;; amdgpu-corpus repo=zjin-lcf/HeCBench kind=compiled arch=gfx1030 opt=O3
	.amdgcn_target "amdgcn-amd-amdhsa--gfx1030"
	.amdhsa_code_object_version 6
	.text
	.protected	_Z15updatePressuresP14fluid_particlePK5param ; -- Begin function _Z15updatePressuresP14fluid_particlePK5param
	.globl	_Z15updatePressuresP14fluid_particlePK5param
	.p2align	8
	.type	_Z15updatePressuresP14fluid_particlePK5param,@function
_Z15updatePressuresP14fluid_particlePK5param: ; @_Z15updatePressuresP14fluid_particlePK5param
; %bb.0:
	s_clause 0x1
	s_load_dwordx2 s[12:13], s[4:5], 0x8
	s_load_dword s0, s[4:5], 0x1c
	s_waitcnt lgkmcnt(0)
	s_load_dword s33, s[12:13], 0x4c
	s_and_b32 s0, s0, 0xffff
	v_mad_u64_u32 v[0:1], null, s6, s0, v[0:1]
	s_mov_b32 s0, exec_lo
	s_waitcnt lgkmcnt(0)
	v_cmpx_gt_i32_e64 s33, v0
	s_cbranch_execz .LBB0_13
; %bb.1:
	s_load_dwordx2 s[2:3], s[4:5], 0x0
	s_cmp_lt_i32 s33, 1
	s_waitcnt lgkmcnt(0)
	v_mad_i64_i32 v[14:15], null, 0x70, v0, s[2:3]
	global_load_dwordx2 v[0:1], v[14:15], off
	s_cbranch_scc1 .LBB0_12
; %bb.2:
	global_load_dwordx4 v[2:5], v[14:15], off offset:48
	s_load_dwordx2 s[14:15], s[12:13], 0x18
	s_clause 0x1
	global_load_dwordx4 v[6:9], v[14:15], off offset:32
	global_load_dwordx4 v[10:13], v[14:15], off offset:16
	s_mov_b32 s0, 0x54442d18
	s_mov_b32 s1, 0x400921fb
	s_clause 0x1
	s_load_dwordx2 s[16:17], s[12:13], 0x28
	s_load_dwordx2 s[18:19], s[12:13], 0x8
	s_add_u32 s20, s2, 32
	s_mov_b32 s22, 0x55555555
	s_mov_b32 s24, 0x968915a9
	;; [unrolled: 1-line block ×13, first 2 shown]
	s_waitcnt lgkmcnt(0)
	v_mul_f64 v[16:17], s[14:15], s[0:1]
	v_mul_f64 v[22:23], s[14:15], s[14:15]
	s_mov_b32 s52, 0x652b82fe
	s_mov_b32 s58, 0xfca7ab0c
	;; [unrolled: 1-line block ×20, first 2 shown]
	v_mul_f64 v[16:17], s[14:15], v[16:17]
	v_div_scale_f64 v[18:19], null, v[22:23], v[22:23], -1.0
	s_mov_b32 s41, 0x3fd24924
	s_mov_b32 s43, 0x3fd99999
	;; [unrolled: 1-line block ×3, first 2 shown]
	s_addc_u32 s21, s3, 0
	s_mov_b32 s47, 0x3c7abc9e
	s_mov_b32 s49, 0xbfe55555
	;; [unrolled: 1-line block ×15, first 2 shown]
	v_mul_f64 v[20:21], s[14:15], v[16:17]
	v_rcp_f64_e32 v[26:27], v[18:19]
	s_mov_b32 s77, 0x3fc55555
	s_mov_b32 s79, 0x3fe00000
	v_div_scale_f64 v[16:17], null, v[20:21], v[20:21], 1.0
	v_div_scale_f64 v[32:33], vcc_lo, 1.0, v[20:21], 1.0
	v_fma_f64 v[30:31], -v[18:19], v[26:27], 1.0
	v_rcp_f64_e32 v[24:25], v[16:17]
	v_fma_f64 v[26:27], v[26:27], v[30:31], v[26:27]
	v_fma_f64 v[28:29], -v[16:17], v[24:25], 1.0
	v_fma_f64 v[30:31], -v[18:19], v[26:27], 1.0
	v_fma_f64 v[24:25], v[24:25], v[28:29], v[24:25]
	v_fma_f64 v[26:27], v[26:27], v[30:31], v[26:27]
	v_fma_f64 v[28:29], -v[16:17], v[24:25], 1.0
	v_fma_f64 v[24:25], v[24:25], v[28:29], v[24:25]
	v_div_scale_f64 v[28:29], s0, -1.0, v[22:23], -1.0
	v_mul_f64 v[30:31], v[32:33], v[24:25]
	v_mul_f64 v[34:35], v[28:29], v[26:27]
	v_fma_f64 v[32:33], -v[16:17], v[30:31], v[32:33]
	v_fma_f64 v[17:18], -v[18:19], v[34:35], v[28:29]
	v_mov_b32_e32 v16, 0
	v_div_fmas_f64 v[24:25], v[32:33], v[24:25], v[30:31]
	s_mov_b32 vcc_lo, s0
	v_div_fmas_f64 v[26:27], v[17:18], v[26:27], v[34:35]
	v_mul_f64 v[18:19], s[14:15], 4.0
	v_div_fixup_f64 v[20:21], v[24:25], v[20:21], 1.0
	v_div_fixup_f64 v[22:23], v[26:27], v[22:23], -1.0
	s_branch .LBB0_5
.LBB0_3:                                ;   in Loop: Header=BB0_5 Depth=1
	s_or_b32 exec_lo, exec_lo, s0
	v_mul_f64 v[34:35], v[20:21], v[34:35]
.LBB0_4:                                ;   in Loop: Header=BB0_5 Depth=1
	s_or_b32 exec_lo, exec_lo, s4
	v_add_f64 v[30:31], v[2:3], -s[8:9]
	v_mul_f64 v[32:33], s[18:19], v[34:35]
	v_add_f64 v[34:35], v[8:9], -s[6:7]
	v_add_f64 v[36:37], v[4:5], -s[10:11]
	s_add_i32 s33, s33, -1
	s_add_u32 s20, s20, 0x70
	s_addc_u32 s21, s21, 0
	s_cmp_eq_u32 s33, 0
	v_mul_f64 v[30:31], v[30:31], v[32:33]
	v_mul_f64 v[34:35], v[34:35], v[32:33]
	;; [unrolled: 1-line block ×4, first 2 shown]
	v_fma_f64 v[24:25], v[24:25], v[34:35], v[26:27]
	v_fma_f64 v[24:25], v[28:29], v[30:31], v[24:25]
	v_fma_f64 v[0:1], s[16:17], v[24:25], v[0:1]
	s_cbranch_scc1 .LBB0_12
.LBB0_5:                                ; =>This Inner Loop Header: Depth=1
	s_add_u32 s0, s20, -16
	s_addc_u32 s1, s21, -1
	s_clause 0x1
	s_load_dwordx4 s[8:11], s[20:21], 0x10
	s_load_dwordx8 s[0:7], s[0:1], 0x0
	s_waitcnt vmcnt(0) lgkmcnt(0)
	v_add_f64 v[26:27], v[12:13], -s[2:3]
	v_add_f64 v[24:25], v[10:11], -s[0:1]
	;; [unrolled: 1-line block ×3, first 2 shown]
	s_mov_b32 s4, exec_lo
	v_mul_f64 v[30:31], v[26:27], v[26:27]
	v_fma_f64 v[30:31], v[24:25], v[24:25], v[30:31]
	v_fma_f64 v[30:31], v[28:29], v[28:29], v[30:31]
	v_cmp_gt_f64_e32 vcc_lo, 0x10000000, v[30:31]
	v_cndmask_b32_e64 v17, 0, 0x100, vcc_lo
	v_ldexp_f64 v[30:31], v[30:31], v17
	v_cndmask_b32_e64 v17, 0, 0xffffff80, vcc_lo
	v_rsq_f64_e32 v[32:33], v[30:31]
	v_cmp_class_f64_e64 vcc_lo, v[30:31], 0x260
	v_mul_f64 v[34:35], v[30:31], v[32:33]
	v_mul_f64 v[32:33], v[32:33], 0.5
	v_fma_f64 v[36:37], -v[32:33], v[34:35], 0.5
	v_fma_f64 v[34:35], v[34:35], v[36:37], v[34:35]
	v_fma_f64 v[32:33], v[32:33], v[36:37], v[32:33]
	v_fma_f64 v[36:37], -v[34:35], v[34:35], v[30:31]
	v_fma_f64 v[34:35], v[36:37], v[32:33], v[34:35]
	v_fma_f64 v[36:37], -v[34:35], v[34:35], v[30:31]
	v_fma_f64 v[32:33], v[36:37], v[32:33], v[34:35]
	v_ldexp_f64 v[32:33], v[32:33], v17
	v_cndmask_b32_e32 v33, v33, v31, vcc_lo
	v_cndmask_b32_e32 v32, v32, v30, vcc_lo
	v_div_scale_f64 v[30:31], null, s[14:15], s[14:15], v[32:33]
	v_rcp_f64_e32 v[34:35], v[30:31]
	v_fma_f64 v[36:37], -v[30:31], v[34:35], 1.0
	v_fma_f64 v[34:35], v[34:35], v[36:37], v[34:35]
	v_fma_f64 v[36:37], -v[30:31], v[34:35], 1.0
	v_fma_f64 v[34:35], v[34:35], v[36:37], v[34:35]
	v_div_scale_f64 v[36:37], vcc_lo, v[32:33], s[14:15], v[32:33]
	v_mul_f64 v[38:39], v[36:37], v[34:35]
	v_fma_f64 v[30:31], -v[30:31], v[38:39], v[36:37]
	v_div_fmas_f64 v[30:31], v[30:31], v[34:35], v[38:39]
	v_mov_b32_e32 v34, 0
	v_mov_b32_e32 v35, 0
	v_div_fixup_f64 v[30:31], v[30:31], s[14:15], v[32:33]
	v_cmpx_nle_f64_e32 2.0, v[30:31]
	s_cbranch_execz .LBB0_4
; %bb.6:                                ;   in Loop: Header=BB0_5 Depth=1
                                        ; implicit-def: $vgpr34_vgpr35
	s_mov_b32 s0, exec_lo
	v_cmpx_ngt_f64_e32 1.0, v[30:31]
	s_xor_b32 s5, exec_lo, s0
	s_cbranch_execz .LBB0_10
; %bb.7:                                ;   in Loop: Header=BB0_5 Depth=1
	v_cmp_le_f64_e32 vcc_lo, 1.0, v[30:31]
	v_cmp_gt_f64_e64 s0, 2.0, v[30:31]
	v_mov_b32_e32 v34, 0
	v_mov_b32_e32 v35, 0
	s_and_b32 s0, vcc_lo, s0
	s_and_saveexec_b32 s80, s0
	s_cbranch_execz .LBB0_9
; %bb.8:                                ;   in Loop: Header=BB0_5 Depth=1
	v_add_f64 v[30:31], -v[30:31], 2.0
	s_mov_b32 s48, s22
	s_mov_b32 s54, s44
	;; [unrolled: 1-line block ×3, first 2 shown]
	v_mul_f64 v[32:33], v[32:33], v[18:19]
	v_frexp_mant_f64_e64 v[34:35], |v[30:31]|
	v_cmp_gt_f64_e32 vcc_lo, s[22:23], v[34:35]
	v_cndmask_b32_e64 v17, 0, 1, vcc_lo
	v_ldexp_f64 v[34:35], v[34:35], v17
	v_frexp_exp_i32_f64_e32 v17, v[30:31]
	v_add_f64 v[36:37], v[34:35], 1.0
	v_add_f64 v[42:43], v[34:35], -1.0
	v_subrev_co_ci_u32_e64 v17, null, 0, v17, vcc_lo
	v_cmp_eq_f64_e32 vcc_lo, 1.0, v[30:31]
	v_rcp_f64_e32 v[38:39], v[36:37]
	v_add_f64 v[44:45], v[36:37], -1.0
	v_add_f64 v[34:35], v[34:35], -v[44:45]
	v_fma_f64 v[40:41], -v[36:37], v[38:39], 1.0
	v_fma_f64 v[38:39], v[40:41], v[38:39], v[38:39]
	v_fma_f64 v[40:41], -v[36:37], v[38:39], 1.0
	v_fma_f64 v[38:39], v[40:41], v[38:39], v[38:39]
	v_mul_f64 v[40:41], v[42:43], v[38:39]
	v_mul_f64 v[46:47], v[36:37], v[40:41]
	v_fma_f64 v[36:37], v[40:41], v[36:37], -v[46:47]
	v_fma_f64 v[34:35], v[40:41], v[34:35], v[36:37]
	v_add_f64 v[36:37], v[46:47], v[34:35]
	v_add_f64 v[44:45], v[42:43], -v[36:37]
	v_add_f64 v[46:47], v[36:37], -v[46:47]
	;; [unrolled: 1-line block ×5, first 2 shown]
	v_add_f64 v[34:35], v[34:35], v[36:37]
	v_add_f64 v[34:35], v[44:45], v[34:35]
	v_mul_f64 v[34:35], v[38:39], v[34:35]
	v_add_f64 v[36:37], v[40:41], v[34:35]
	v_add_f64 v[38:39], v[36:37], -v[40:41]
	v_mul_f64 v[40:41], v[36:37], v[36:37]
	v_add_f64 v[34:35], v[34:35], -v[38:39]
	v_fma_f64 v[38:39], v[36:37], v[36:37], -v[40:41]
	v_add_f64 v[42:43], v[34:35], v[34:35]
	v_fma_f64 v[38:39], v[36:37], v[42:43], v[38:39]
	v_add_f64 v[42:43], v[40:41], v[38:39]
	v_fma_f64 v[44:45], v[42:43], s[26:27], s[24:25]
	v_add_f64 v[40:41], v[42:43], -v[40:41]
	v_mul_f64 v[50:51], v[36:37], v[42:43]
	v_fma_f64 v[44:45], v[42:43], v[44:45], s[28:29]
	v_add_f64 v[38:39], v[38:39], -v[40:41]
	v_fma_f64 v[44:45], v[42:43], v[44:45], s[30:31]
	v_fma_f64 v[44:45], v[42:43], v[44:45], s[34:35]
	;; [unrolled: 1-line block ×6, first 2 shown]
	v_mul_f64 v[46:47], v[42:43], v[44:45]
	v_fma_f64 v[40:41], v[42:43], v[44:45], -v[46:47]
	v_fma_f64 v[40:41], v[38:39], v[44:45], v[40:41]
	v_add_f64 v[44:45], v[46:47], v[40:41]
	v_add_f64 v[48:49], v[44:45], s[22:23]
	v_add_f64 v[46:47], v[44:45], -v[46:47]
	v_add_f64 v[52:53], v[48:49], s[48:49]
	v_add_f64 v[40:41], v[40:41], -v[46:47]
	v_fma_f64 v[46:47], v[42:43], v[36:37], -v[50:51]
	v_add_f64 v[44:45], v[44:45], -v[52:53]
	v_add_f64 v[40:41], v[40:41], s[50:51]
	v_fma_f64 v[42:43], v[42:43], v[34:35], v[46:47]
	v_ldexp_f64 v[34:35], v[34:35], 1
	v_add_f64 v[40:41], v[40:41], v[44:45]
	v_fma_f64 v[38:39], v[38:39], v[36:37], v[42:43]
	v_ldexp_f64 v[36:37], v[36:37], 1
	v_add_f64 v[42:43], v[48:49], v[40:41]
	v_add_f64 v[44:45], v[50:51], v[38:39]
	v_add_f64 v[46:47], v[48:49], -v[42:43]
	v_mul_f64 v[48:49], v[44:45], v[42:43]
	v_add_f64 v[50:51], v[44:45], -v[50:51]
	v_add_f64 v[40:41], v[40:41], v[46:47]
	v_fma_f64 v[46:47], v[44:45], v[42:43], -v[48:49]
	v_add_f64 v[38:39], v[38:39], -v[50:51]
	v_fma_f64 v[40:41], v[44:45], v[40:41], v[46:47]
	v_fma_f64 v[38:39], v[38:39], v[42:43], v[40:41]
	v_cvt_f64_i32_e32 v[42:43], v17
	v_cndmask_b32_e64 v17, 2.0, 0x3ff00000, vcc_lo
	v_add_f64 v[40:41], v[48:49], v[38:39]
	v_add_f64 v[44:45], v[36:37], v[40:41]
	v_add_f64 v[46:47], v[40:41], -v[48:49]
	v_mul_f64 v[48:49], v[42:43], s[44:45]
	v_add_f64 v[36:37], v[44:45], -v[36:37]
	v_add_f64 v[38:39], v[38:39], -v[46:47]
	v_fma_f64 v[46:47], v[42:43], s[44:45], -v[48:49]
	v_add_f64 v[36:37], v[40:41], -v[36:37]
	v_add_f64 v[34:35], v[34:35], v[38:39]
	v_fma_f64 v[38:39], v[42:43], s[46:47], v[46:47]
	v_add_f64 v[34:35], v[34:35], v[36:37]
	v_add_f64 v[36:37], v[48:49], v[38:39]
	;; [unrolled: 1-line block ×3, first 2 shown]
	v_add_f64 v[48:49], v[36:37], -v[48:49]
	v_add_f64 v[42:43], v[36:37], v[40:41]
	v_add_f64 v[44:45], v[40:41], -v[44:45]
	v_add_f64 v[38:39], v[38:39], -v[48:49]
	v_div_scale_f64 v[48:49], null, v[32:33], v[32:33], 0xc0080000
	v_add_f64 v[46:47], v[42:43], -v[36:37]
	v_add_f64 v[34:35], v[34:35], -v[44:45]
	;; [unrolled: 1-line block ×4, first 2 shown]
	v_add_f64 v[44:45], v[38:39], v[34:35]
	v_add_f64 v[36:37], v[36:37], -v[50:51]
	v_rcp_f64_e32 v[50:51], v[48:49]
	v_add_f64 v[36:37], v[40:41], v[36:37]
	v_add_f64 v[40:41], v[44:45], -v[38:39]
	v_fma_f64 v[52:53], -v[48:49], v[50:51], 1.0
	v_add_f64 v[36:37], v[44:45], v[36:37]
	v_add_f64 v[44:45], v[44:45], -v[40:41]
	v_add_f64 v[34:35], v[34:35], -v[40:41]
	v_add_f64 v[46:47], v[42:43], v[36:37]
	v_add_f64 v[38:39], v[38:39], -v[44:45]
	v_add_f64 v[40:41], v[46:47], -v[42:43]
	v_add_f64 v[34:35], v[34:35], v[38:39]
	v_add_f64 v[36:37], v[36:37], -v[40:41]
	v_add_f64 v[34:35], v[34:35], v[36:37]
	v_add_f64 v[36:37], v[46:47], v[34:35]
	v_add_f64 v[38:39], v[36:37], -v[46:47]
	v_mul_f64 v[40:41], v[16:17], v[36:37]
	v_add_f64 v[34:35], v[34:35], -v[38:39]
	v_fma_f64 v[36:37], v[16:17], v[36:37], -v[40:41]
	v_cmp_class_f64_e64 vcc_lo, v[40:41], 0x204
	v_fma_f64 v[34:35], v[16:17], v[34:35], v[36:37]
	v_add_f64 v[36:37], v[40:41], v[34:35]
	v_cndmask_b32_e32 v39, v37, v41, vcc_lo
	v_cndmask_b32_e32 v38, v36, v40, vcc_lo
	v_add_f64 v[36:37], v[36:37], -v[40:41]
	v_mul_f64 v[42:43], v[38:39], s[52:53]
	v_cmp_nlt_f64_e64 s0, 0x40900000, v[38:39]
	v_cmp_neq_f64_e64 vcc_lo, 0x7ff00000, |v[38:39]|
	v_cmp_ngt_f64_e64 s1, 0xc090cc00, v[38:39]
	v_add_f64 v[34:35], v[34:35], -v[36:37]
	v_div_scale_f64 v[36:37], s2, 0xc0080000, v[32:33], 0xc0080000
	v_rndne_f64_e32 v[42:43], v[42:43]
	v_cndmask_b32_e32 v35, 0, v35, vcc_lo
	v_cndmask_b32_e32 v34, 0, v34, vcc_lo
	s_and_b32 vcc_lo, s1, s0
	v_fma_f64 v[44:45], v[42:43], s[54:55], v[38:39]
	v_cvt_i32_f64_e32 v54, v[42:43]
	v_mul_f64 v[38:39], v[16:17], 0.5
	v_fma_f64 v[44:45], v[42:43], s[56:57], v[44:45]
	v_fma_f64 v[46:47], v[44:45], s[60:61], s[58:59]
	;; [unrolled: 1-line block ×10, first 2 shown]
	v_fma_f64 v[46:47], v[44:45], v[46:47], 1.0
	v_fma_f64 v[42:43], v[44:45], v[46:47], 1.0
	v_fma_f64 v[44:45], v[50:51], v[52:53], v[50:51]
	v_trunc_f64_e32 v[52:53], v[16:17]
	v_ldexp_f64 v[40:41], v[42:43], v54
	v_fma_f64 v[42:43], -v[48:49], v[44:45], 1.0
	v_cmp_eq_f64_e64 s3, v[52:53], v[16:17]
	v_cndmask_b32_e64 v46, 0x7ff00000, v41, s0
	v_fma_f64 v[41:42], v[44:45], v[42:43], v[44:45]
	v_cndmask_b32_e32 v43, 0, v40, vcc_lo
	s_mov_b32 vcc_lo, s2
	v_cmp_class_f64_e64 s2, v[30:31], 0x204
	v_cndmask_b32_e64 v44, 0, v46, s1
	v_trunc_f64_e32 v[45:46], v[38:39]
	v_fma_f64 v[34:35], v[43:44], v[34:35], v[43:44]
	v_cmp_class_f64_e64 s1, v[43:44], 0x204
	v_mul_f64 v[50:51], v[36:37], v[41:42]
	v_cmp_neq_f64_e64 s0, v[45:46], v[38:39]
	v_cndmask_b32_e64 v34, v34, v43, s1
	v_cndmask_b32_e64 v17, v35, v44, s1
	v_cmp_eq_f64_e64 s1, 0, v[30:31]
	v_cndmask_b32_e64 v35, 0, v34, s3
	v_fma_f64 v[36:37], -v[48:49], v[50:51], v[36:37]
	v_div_fmas_f64 v[36:37], v[36:37], v[41:42], v[50:51]
	s_and_b32 vcc_lo, s3, s0
	v_cmp_gt_f64_e64 s0, 0, v[30:31]
	v_cndmask_b32_e32 v38, 0x3ff00000, v31, vcc_lo
	v_cndmask_b32_e64 v30, 0x7ff00000, 0, s1
	v_cndmask_b32_e32 v31, 0, v31, vcc_lo
	s_or_b32 vcc_lo, s1, s2
	v_bfi_b32 v17, 0x7fffffff, v17, v38
	v_bfi_b32 v31, 0x7fffffff, v30, v31
	v_cndmask_b32_e64 v38, 0x7ff80000, v17, s3
	v_div_fixup_f64 v[32:33], v[36:37], v[32:33], 0xc0080000
	v_cndmask_b32_e64 v17, v17, v38, s0
	v_cndmask_b32_e64 v34, v34, v35, s0
	v_cndmask_b32_e32 v31, v17, v31, vcc_lo
	v_cndmask_b32_e64 v30, v34, 0, vcc_lo
	v_mul_f64 v[34:35], v[32:33], v[30:31]
.LBB0_9:                                ;   in Loop: Header=BB0_5 Depth=1
	s_or_b32 exec_lo, exec_lo, s80
                                        ; implicit-def: $vgpr30_vgpr31
.LBB0_10:                               ;   in Loop: Header=BB0_5 Depth=1
	s_andn2_saveexec_b32 s0, s5
	s_cbranch_execz .LBB0_3
; %bb.11:                               ;   in Loop: Header=BB0_5 Depth=1
	v_fma_f64 v[30:31], v[30:31], s[74:75], 0x40080000
	v_mul_f64 v[34:35], v[22:23], v[30:31]
	s_branch .LBB0_3
.LBB0_12:
	s_clause 0x1
	s_load_dwordx2 s[2:3], s[12:13], 0x0
	s_load_dwordx2 s[0:1], s[12:13], 0x40
	s_mov_b32 s4, 0x4222de17
	s_mov_b32 s5, 0x3fbdee67
	s_waitcnt vmcnt(0) lgkmcnt(0)
	v_div_scale_f64 v[6:7], null, s[2:3], s[2:3], v[0:1]
	v_mul_f64 v[2:3], s[2:3], s[0:1]
	v_rcp_f64_e32 v[10:11], v[6:7]
	v_mul_f64 v[2:3], s[0:1], v[2:3]
	s_mov_b32 s1, 0x3fe55555
	v_div_scale_f64 v[4:5], null, 0x401c0000, 0x401c0000, v[2:3]
	v_fma_f64 v[16:17], -v[6:7], v[10:11], 1.0
	v_div_scale_f64 v[18:19], vcc_lo, v[2:3], 0x401c0000, v[2:3]
	v_rcp_f64_e32 v[8:9], v[4:5]
	v_fma_f64 v[10:11], v[10:11], v[16:17], v[10:11]
	v_fma_f64 v[16:17], -v[6:7], v[10:11], 1.0
	v_fma_f64 v[12:13], -v[4:5], v[8:9], 1.0
	v_fma_f64 v[10:11], v[10:11], v[16:17], v[10:11]
	v_fma_f64 v[8:9], v[8:9], v[12:13], v[8:9]
	v_fma_f64 v[12:13], -v[4:5], v[8:9], 1.0
	v_fma_f64 v[8:9], v[8:9], v[12:13], v[8:9]
	v_div_scale_f64 v[12:13], s0, v[0:1], s[2:3], v[0:1]
	v_mul_f64 v[16:17], v[18:19], v[8:9]
	v_mul_f64 v[20:21], v[12:13], v[10:11]
	v_fma_f64 v[4:5], -v[4:5], v[16:17], v[18:19]
	v_fma_f64 v[6:7], -v[6:7], v[20:21], v[12:13]
	v_div_fmas_f64 v[4:5], v[4:5], v[8:9], v[16:17]
	s_mov_b32 vcc_lo, s0
	s_mov_b32 s0, 0x55555555
	v_div_fmas_f64 v[6:7], v[6:7], v[10:11], v[20:21]
	v_div_fixup_f64 v[2:3], v[4:5], 0x401c0000, v[2:3]
	v_div_fixup_f64 v[6:7], v[6:7], s[2:3], v[0:1]
	s_mov_b32 s2, 0x968915a9
	s_mov_b32 s3, 0x3fba6564
	v_frexp_mant_f64_e64 v[8:9], |v[6:7]|
	v_cmp_gt_f64_e32 vcc_lo, s[0:1], v[8:9]
	v_cndmask_b32_e64 v10, 0, 1, vcc_lo
	v_ldexp_f64 v[8:9], v[8:9], v10
	v_add_f64 v[10:11], v[8:9], 1.0
	v_add_f64 v[18:19], v[8:9], -1.0
	v_rcp_f64_e32 v[12:13], v[10:11]
	v_add_f64 v[20:21], v[10:11], -1.0
	v_add_f64 v[8:9], v[8:9], -v[20:21]
	v_fma_f64 v[16:17], -v[10:11], v[12:13], 1.0
	v_fma_f64 v[12:13], v[16:17], v[12:13], v[12:13]
	v_fma_f64 v[16:17], -v[10:11], v[12:13], 1.0
	v_fma_f64 v[12:13], v[16:17], v[12:13], v[12:13]
	v_mul_f64 v[16:17], v[18:19], v[12:13]
	v_mul_f64 v[22:23], v[10:11], v[16:17]
	v_fma_f64 v[10:11], v[16:17], v[10:11], -v[22:23]
	v_fma_f64 v[8:9], v[16:17], v[8:9], v[10:11]
	v_add_f64 v[10:11], v[22:23], v[8:9]
	v_add_f64 v[20:21], v[18:19], -v[10:11]
	v_add_f64 v[22:23], v[10:11], -v[22:23]
	;; [unrolled: 1-line block ×5, first 2 shown]
	v_add_f64 v[8:9], v[8:9], v[10:11]
	v_add_f64 v[8:9], v[20:21], v[8:9]
	v_mul_f64 v[8:9], v[12:13], v[8:9]
	v_add_f64 v[10:11], v[16:17], v[8:9]
	v_add_f64 v[12:13], v[10:11], -v[16:17]
	v_mul_f64 v[16:17], v[10:11], v[10:11]
	v_add_f64 v[8:9], v[8:9], -v[12:13]
	v_fma_f64 v[12:13], v[10:11], v[10:11], -v[16:17]
	v_add_f64 v[18:19], v[8:9], v[8:9]
	v_fma_f64 v[12:13], v[10:11], v[18:19], v[12:13]
	v_add_f64 v[18:19], v[16:17], v[12:13]
	v_fma_f64 v[20:21], v[18:19], s[4:5], s[2:3]
	s_mov_b32 s2, 0x3abe935a
	s_mov_b32 s3, 0x3fbe25e4
	v_add_f64 v[16:17], v[18:19], -v[16:17]
	v_mul_f64 v[26:27], v[10:11], v[18:19]
	s_mov_b32 s4, 0x652b82fe
	s_mov_b32 s5, 0x3ff71547
	v_fma_f64 v[20:21], v[18:19], v[20:21], s[2:3]
	s_mov_b32 s2, 0x47e6c9c2
	s_mov_b32 s3, 0x3fc110ef
	v_add_f64 v[12:13], v[12:13], -v[16:17]
	v_fma_f64 v[20:21], v[18:19], v[20:21], s[2:3]
	s_mov_b32 s2, 0xcfa74449
	s_mov_b32 s3, 0x3fc3b13b
	v_fma_f64 v[20:21], v[18:19], v[20:21], s[2:3]
	s_mov_b32 s2, 0x71bf3c30
	s_mov_b32 s3, 0x3fc745d1
	;; [unrolled: 3-line block ×6, first 2 shown]
	v_mul_f64 v[22:23], v[18:19], v[20:21]
	v_fma_f64 v[16:17], v[18:19], v[20:21], -v[22:23]
	v_fma_f64 v[16:17], v[12:13], v[20:21], v[16:17]
	v_add_f64 v[20:21], v[22:23], v[16:17]
	v_add_f64 v[24:25], v[20:21], s[0:1]
	v_add_f64 v[22:23], v[20:21], -v[22:23]
	s_mov_b32 s1, 0xbfe55555
	v_add_f64 v[28:29], v[24:25], s[0:1]
	v_add_f64 v[16:17], v[16:17], -v[22:23]
	v_fma_f64 v[22:23], v[18:19], v[10:11], -v[26:27]
	s_mov_b32 s0, 0xd5df274d
	s_mov_b32 s1, 0x3c8543b0
	v_add_f64 v[20:21], v[20:21], -v[28:29]
	v_add_f64 v[16:17], v[16:17], s[0:1]
	v_fma_f64 v[18:19], v[18:19], v[8:9], v[22:23]
	s_mov_b32 s1, 0x3fe62e42
	s_mov_b32 s0, 0xfefa39ef
	v_ldexp_f64 v[8:9], v[8:9], 1
	v_add_f64 v[16:17], v[16:17], v[20:21]
	v_fma_f64 v[12:13], v[12:13], v[10:11], v[18:19]
	v_ldexp_f64 v[10:11], v[10:11], 1
	v_add_f64 v[18:19], v[24:25], v[16:17]
	v_add_f64 v[20:21], v[26:27], v[12:13]
	v_add_f64 v[22:23], v[24:25], -v[18:19]
	v_mul_f64 v[24:25], v[20:21], v[18:19]
	v_add_f64 v[26:27], v[20:21], -v[26:27]
	v_add_f64 v[16:17], v[16:17], v[22:23]
	v_fma_f64 v[22:23], v[20:21], v[18:19], -v[24:25]
	v_add_f64 v[12:13], v[12:13], -v[26:27]
	v_fma_f64 v[16:17], v[20:21], v[16:17], v[22:23]
	v_fma_f64 v[12:13], v[12:13], v[18:19], v[16:17]
	v_frexp_exp_i32_f64_e32 v18, v[6:7]
	v_add_f64 v[16:17], v[24:25], v[12:13]
	v_subrev_co_ci_u32_e64 v18, null, 0, v18, vcc_lo
	v_cmp_eq_f64_e32 vcc_lo, 1.0, v[6:7]
	v_cvt_f64_i32_e32 v[18:19], v18
	v_add_f64 v[20:21], v[10:11], v[16:17]
	v_add_f64 v[22:23], v[16:17], -v[24:25]
	v_mul_f64 v[24:25], v[18:19], s[0:1]
	v_add_f64 v[10:11], v[20:21], -v[10:11]
	v_add_f64 v[12:13], v[12:13], -v[22:23]
	v_fma_f64 v[22:23], v[18:19], s[0:1], -v[24:25]
	s_mov_b32 s1, 0xbfe62e42
	v_add_f64 v[10:11], v[16:17], -v[10:11]
	v_add_f64 v[8:9], v[8:9], v[12:13]
	v_fma_f64 v[12:13], v[18:19], s[2:3], v[22:23]
	s_mov_b32 s3, 0xbc7abc9e
	v_add_f64 v[8:9], v[8:9], v[10:11]
	v_add_f64 v[10:11], v[24:25], v[12:13]
	;; [unrolled: 1-line block ×3, first 2 shown]
	v_add_f64 v[24:25], v[10:11], -v[24:25]
	v_add_f64 v[18:19], v[10:11], v[16:17]
	v_add_f64 v[20:21], v[16:17], -v[20:21]
	v_add_f64 v[12:13], v[12:13], -v[24:25]
	;; [unrolled: 1-line block ×6, first 2 shown]
	v_add_f64 v[20:21], v[12:13], v[8:9]
	v_add_f64 v[10:11], v[10:11], -v[26:27]
	v_add_f64 v[10:11], v[16:17], v[10:11]
	v_add_f64 v[16:17], v[20:21], -v[12:13]
	;; [unrolled: 2-line block ×3, first 2 shown]
	v_add_f64 v[8:9], v[8:9], -v[16:17]
	v_add_f64 v[22:23], v[18:19], v[10:11]
	v_add_f64 v[12:13], v[12:13], -v[20:21]
	v_add_f64 v[16:17], v[22:23], -v[18:19]
	v_add_f64 v[8:9], v[8:9], v[12:13]
	v_mov_b32_e32 v13, 0x3ff00000
	v_mov_b32_e32 v12, 0
	v_cndmask_b32_e32 v13, 0x401c0000, v13, vcc_lo
	v_add_f64 v[10:11], v[10:11], -v[16:17]
	v_add_f64 v[8:9], v[8:9], v[10:11]
	v_add_f64 v[10:11], v[22:23], v[8:9]
	v_add_f64 v[16:17], v[10:11], -v[22:23]
	v_mul_f64 v[18:19], v[12:13], v[10:11]
	v_add_f64 v[8:9], v[8:9], -v[16:17]
	v_fma_f64 v[10:11], v[12:13], v[10:11], -v[18:19]
	v_cmp_class_f64_e64 vcc_lo, v[18:19], 0x204
	v_fma_f64 v[8:9], v[12:13], v[8:9], v[10:11]
	v_add_f64 v[10:11], v[18:19], v[8:9]
	v_cndmask_b32_e32 v17, v11, v19, vcc_lo
	v_cndmask_b32_e32 v16, v10, v18, vcc_lo
	v_add_f64 v[10:11], v[10:11], -v[18:19]
	v_mul_f64 v[20:21], v[16:17], s[4:5]
	v_cmp_neq_f64_e64 vcc_lo, 0x7ff00000, |v[16:17]|
	v_add_f64 v[8:9], v[8:9], -v[10:11]
	v_mul_f64 v[10:11], v[12:13], 0.5
	v_rndne_f64_e32 v[20:21], v[20:21]
	v_cndmask_b32_e32 v9, 0, v9, vcc_lo
	v_cndmask_b32_e32 v8, 0, v8, vcc_lo
	v_fma_f64 v[22:23], v[20:21], s[0:1], v[16:17]
	s_mov_b32 s0, 0xfca7ab0c
	s_mov_b32 s1, 0x3e928af3
	v_cvt_i32_f64_e32 v26, v[20:21]
	v_fma_f64 v[22:23], v[20:21], s[2:3], v[22:23]
	s_mov_b32 s2, 0x6a5dcb37
	s_mov_b32 s3, 0x3e5ade15
	v_fma_f64 v[24:25], v[22:23], s[2:3], s[0:1]
	s_mov_b32 s0, 0x623fde64
	s_mov_b32 s1, 0x3ec71dee
	v_cmp_class_f64_e64 s2, v[6:7], 0x204
	v_fma_f64 v[24:25], v[22:23], v[24:25], s[0:1]
	s_mov_b32 s0, 0x7c89e6b0
	s_mov_b32 s1, 0x3efa0199
	v_fma_f64 v[24:25], v[22:23], v[24:25], s[0:1]
	s_mov_b32 s0, 0x14761f6e
	s_mov_b32 s1, 0x3f2a01a0
	;; [unrolled: 3-line block ×7, first 2 shown]
	v_fma_f64 v[24:25], v[22:23], v[24:25], s[0:1]
	v_cmp_nlt_f64_e64 s0, 0x40900000, v[16:17]
	v_cmp_ngt_f64_e64 s1, 0xc090cc00, v[16:17]
	v_fma_f64 v[24:25], v[22:23], v[24:25], 1.0
	s_and_b32 vcc_lo, s1, s0
	v_fma_f64 v[20:21], v[22:23], v[24:25], 1.0
	v_ldexp_f64 v[18:19], v[20:21], v26
	v_trunc_f64_e32 v[20:21], v[12:13]
	v_cndmask_b32_e64 v19, 0x7ff00000, v19, s0
	v_cndmask_b32_e32 v16, 0, v18, vcc_lo
	v_cndmask_b32_e64 v17, 0, v19, s1
	v_trunc_f64_e32 v[18:19], v[10:11]
	v_cmp_eq_f64_e64 s1, v[20:21], v[12:13]
	v_fma_f64 v[8:9], v[16:17], v[8:9], v[16:17]
	v_cmp_class_f64_e64 s0, v[16:17], 0x204
	v_cmp_neq_f64_e32 vcc_lo, v[18:19], v[10:11]
	v_cndmask_b32_e64 v9, v9, v17, s0
	v_cndmask_b32_e64 v8, v8, v16, s0
	v_cmp_gt_f64_e64 s0, 0, v[6:7]
	v_cndmask_b32_e64 v10, 0, v8, s1
	s_and_b32 vcc_lo, s1, vcc_lo
	v_cndmask_b32_e32 v11, 0x3ff00000, v7, vcc_lo
	v_cndmask_b32_e32 v13, 0, v7, vcc_lo
	v_bfi_b32 v9, 0x7fffffff, v9, v11
	v_cndmask_b32_e64 v8, v8, v10, s0
	v_cndmask_b32_e64 v11, 0x7ff80000, v9, s1
	v_cmp_eq_f64_e64 s1, 0, v[6:7]
	v_cndmask_b32_e64 v9, v9, v11, s0
	v_cndmask_b32_e64 v12, 0x7ff00000, 0, s1
	s_or_b32 vcc_lo, s1, s2
	v_cndmask_b32_e64 v8, v8, 0, vcc_lo
	v_bfi_b32 v10, 0x7fffffff, v12, v13
	v_cndmask_b32_e32 v9, v9, v10, vcc_lo
	v_cmp_o_f64_e32 vcc_lo, v[6:7], v[6:7]
	v_add_f64 v[8:9], v[8:9], -1.0
	v_cndmask_b32_e32 v5, 0x7ff80000, v9, vcc_lo
	v_cndmask_b32_e32 v4, 0, v8, vcc_lo
	v_mul_f64 v[2:3], v[2:3], v[4:5]
	global_store_dwordx4 v[14:15], v[0:3], off
.LBB0_13:
	s_endpgm
	.section	.rodata,"a",@progbits
	.p2align	6, 0x0
	.amdhsa_kernel _Z15updatePressuresP14fluid_particlePK5param
		.amdhsa_group_segment_fixed_size 0
		.amdhsa_private_segment_fixed_size 0
		.amdhsa_kernarg_size 272
		.amdhsa_user_sgpr_count 6
		.amdhsa_user_sgpr_private_segment_buffer 1
		.amdhsa_user_sgpr_dispatch_ptr 0
		.amdhsa_user_sgpr_queue_ptr 0
		.amdhsa_user_sgpr_kernarg_segment_ptr 1
		.amdhsa_user_sgpr_dispatch_id 0
		.amdhsa_user_sgpr_flat_scratch_init 0
		.amdhsa_user_sgpr_private_segment_size 0
		.amdhsa_wavefront_size32 1
		.amdhsa_uses_dynamic_stack 0
		.amdhsa_system_sgpr_private_segment_wavefront_offset 0
		.amdhsa_system_sgpr_workgroup_id_x 1
		.amdhsa_system_sgpr_workgroup_id_y 0
		.amdhsa_system_sgpr_workgroup_id_z 0
		.amdhsa_system_sgpr_workgroup_info 0
		.amdhsa_system_vgpr_workitem_id 0
		.amdhsa_next_free_vgpr 55
		.amdhsa_next_free_sgpr 81
		.amdhsa_reserve_vcc 1
		.amdhsa_reserve_flat_scratch 0
		.amdhsa_float_round_mode_32 0
		.amdhsa_float_round_mode_16_64 0
		.amdhsa_float_denorm_mode_32 3
		.amdhsa_float_denorm_mode_16_64 3
		.amdhsa_dx10_clamp 1
		.amdhsa_ieee_mode 1
		.amdhsa_fp16_overflow 0
		.amdhsa_workgroup_processor_mode 1
		.amdhsa_memory_ordered 1
		.amdhsa_forward_progress 1
		.amdhsa_shared_vgpr_count 0
		.amdhsa_exception_fp_ieee_invalid_op 0
		.amdhsa_exception_fp_denorm_src 0
		.amdhsa_exception_fp_ieee_div_zero 0
		.amdhsa_exception_fp_ieee_overflow 0
		.amdhsa_exception_fp_ieee_underflow 0
		.amdhsa_exception_fp_ieee_inexact 0
		.amdhsa_exception_int_div_zero 0
	.end_amdhsa_kernel
	.text
.Lfunc_end0:
	.size	_Z15updatePressuresP14fluid_particlePK5param, .Lfunc_end0-_Z15updatePressuresP14fluid_particlePK5param
                                        ; -- End function
	.set _Z15updatePressuresP14fluid_particlePK5param.num_vgpr, 55
	.set _Z15updatePressuresP14fluid_particlePK5param.num_agpr, 0
	.set _Z15updatePressuresP14fluid_particlePK5param.numbered_sgpr, 81
	.set _Z15updatePressuresP14fluid_particlePK5param.num_named_barrier, 0
	.set _Z15updatePressuresP14fluid_particlePK5param.private_seg_size, 0
	.set _Z15updatePressuresP14fluid_particlePK5param.uses_vcc, 1
	.set _Z15updatePressuresP14fluid_particlePK5param.uses_flat_scratch, 0
	.set _Z15updatePressuresP14fluid_particlePK5param.has_dyn_sized_stack, 0
	.set _Z15updatePressuresP14fluid_particlePK5param.has_recursion, 0
	.set _Z15updatePressuresP14fluid_particlePK5param.has_indirect_call, 0
	.section	.AMDGPU.csdata,"",@progbits
; Kernel info:
; codeLenInByte = 4892
; TotalNumSgprs: 83
; NumVgprs: 55
; ScratchSize: 0
; MemoryBound: 1
; FloatMode: 240
; IeeeMode: 1
; LDSByteSize: 0 bytes/workgroup (compile time only)
; SGPRBlocks: 0
; VGPRBlocks: 6
; NumSGPRsForWavesPerEU: 83
; NumVGPRsForWavesPerEU: 55
; Occupancy: 16
; WaveLimiterHint : 0
; COMPUTE_PGM_RSRC2:SCRATCH_EN: 0
; COMPUTE_PGM_RSRC2:USER_SGPR: 6
; COMPUTE_PGM_RSRC2:TRAP_HANDLER: 0
; COMPUTE_PGM_RSRC2:TGID_X_EN: 1
; COMPUTE_PGM_RSRC2:TGID_Y_EN: 0
; COMPUTE_PGM_RSRC2:TGID_Z_EN: 0
; COMPUTE_PGM_RSRC2:TIDIG_COMP_CNT: 0
	.text
	.protected	_Z21updateAccelerationsFPP14fluid_particlePK5param ; -- Begin function _Z21updateAccelerationsFPP14fluid_particlePK5param
	.globl	_Z21updateAccelerationsFPP14fluid_particlePK5param
	.p2align	8
	.type	_Z21updateAccelerationsFPP14fluid_particlePK5param,@function
_Z21updateAccelerationsFPP14fluid_particlePK5param: ; @_Z21updateAccelerationsFPP14fluid_particlePK5param
; %bb.0:
	s_clause 0x1
	s_load_dwordx2 s[24:25], s[4:5], 0x8
	s_load_dword s0, s[4:5], 0x1c
	s_waitcnt lgkmcnt(0)
	s_load_dword s33, s[24:25], 0x4c
	s_and_b32 s0, s0, 0xffff
	v_mad_u64_u32 v[22:23], null, s6, s0, v[0:1]
	s_mov_b32 s0, exec_lo
	s_waitcnt lgkmcnt(0)
	v_cmpx_gt_i32_e64 s33, v22
	s_cbranch_execz .LBB1_34
; %bb.1:
	s_load_dwordx2 s[6:7], s[4:5], 0x0
	s_cmp_lt_i32 s33, 1
	s_waitcnt lgkmcnt(0)
	v_mad_i64_i32 v[20:21], null, 0x70, v22, s[6:7]
	s_cbranch_scc1 .LBB1_32
; %bb.2:
	s_clause 0x3
	global_load_dwordx4 v[4:7], v[20:21], off
	global_load_dwordx4 v[8:11], v[20:21], off offset:16
	global_load_dwordx4 v[12:15], v[20:21], off offset:48
	;; [unrolled: 1-line block ×3, first 2 shown]
	v_mov_b32_e32 v23, 0x9999999a
	v_mov_b32_e32 v51, 0x3ff00000
	s_mov_b32 s26, 0x54442d18
	s_mov_b32 s28, 0x55555555
	;; [unrolled: 1-line block ×57, first 2 shown]
	s_waitcnt vmcnt(3)
	v_mul_f64 v[2:3], v[4:5], v[4:5]
	v_div_scale_f64 v[24:25], null, v[2:3], v[2:3], v[6:7]
	v_div_scale_f64 v[28:29], vcc_lo, v[6:7], v[2:3], v[6:7]
	v_rcp_f64_e32 v[0:1], v[24:25]
	v_fma_f64 v[26:27], -v[24:25], v[0:1], 1.0
	v_fma_f64 v[0:1], v[0:1], v[26:27], v[0:1]
	v_fma_f64 v[26:27], -v[24:25], v[0:1], 1.0
	v_fma_f64 v[26:27], v[0:1], v[26:27], v[0:1]
	v_mov_b32_e32 v0, 0
	v_mov_b32_e32 v1, 0
	v_mul_f64 v[30:31], v[28:29], v[26:27]
	v_fma_f64 v[28:29], -v[24:25], v[30:31], v[28:29]
	v_mov_b32_e32 v24, 0xc0239999
	v_mov_b32_e32 v25, 0
	v_div_fmas_f64 v[26:27], v[28:29], v[26:27], v[30:31]
	v_div_fixup_f64 v[6:7], v[26:27], v[2:3], v[6:7]
	v_mov_b32_e32 v2, 0
	v_mov_b32_e32 v3, 0
	s_branch .LBB1_6
.LBB1_3:                                ;   in Loop: Header=BB1_6 Depth=1
	s_or_b32 exec_lo, exec_lo, s0
	v_mul_f64 v[37:38], v[33:34], v[37:38]
.LBB1_4:                                ;   in Loop: Header=BB1_6 Depth=1
	s_or_b32 exec_lo, exec_lo, s2
	v_mul_f64 v[33:34], s[14:15], v[37:38]
	v_fma_f64 v[29:30], v[29:30], v[33:34], v[43:44]
	v_fma_f64 v[26:27], v[27:28], v[33:34], v[41:42]
	;; [unrolled: 1-line block ×3, first 2 shown]
	v_add_f64 v[0:1], v[0:1], v[29:30]
	v_add_f64 v[2:3], v[2:3], v[26:27]
	;; [unrolled: 1-line block ×3, first 2 shown]
.LBB1_5:                                ;   in Loop: Header=BB1_6 Depth=1
	s_or_b32 exec_lo, exec_lo, s90
	s_add_u32 s6, s6, 0x70
	s_addc_u32 s7, s7, 0
	s_add_i32 s33, s33, -1
	s_cmp_eq_u32 s33, 0
	s_cbranch_scc1 .LBB1_33
.LBB1_6:                                ; =>This Inner Loop Header: Depth=1
	v_sub_co_u32 v22, s0, v22, 1
	s_xor_b32 s0, s0, -1
	s_and_saveexec_b32 s90, s0
	s_cbranch_execz .LBB1_5
; %bb.7:                                ;   in Loop: Header=BB1_6 Depth=1
	s_load_dwordx16 s[8:23], s[6:7], 0x0
	s_load_dwordx2 s[86:87], s[24:25], 0x8
	s_waitcnt vmcnt(2) lgkmcnt(0)
	v_add_f64 v[27:28], v[10:11], -s[14:15]
	v_add_f64 v[29:30], v[8:9], -s[12:13]
	s_waitcnt vmcnt(0)
	v_add_f64 v[31:32], v[16:17], -s[16:17]
	s_clause 0x2
	s_load_dwordx2 s[16:17], s[24:25], 0x18
	s_load_dwordx4 s[12:15], s[24:25], 0x30
	s_load_dwordx2 s[88:89], s[24:25], 0x40
	v_mul_f64 v[33:34], v[27:28], v[27:28]
	s_waitcnt lgkmcnt(0)
	v_mul_f64 v[43:44], s[16:17], s[26:27]
	v_fma_f64 v[33:34], v[29:30], v[29:30], v[33:34]
	v_fma_f64 v[37:38], v[31:32], v[31:32], v[33:34]
	v_cmp_gt_f64_e32 vcc_lo, 0x10000000, v[37:38]
	v_cndmask_b32_e64 v26, 0, 0x100, vcc_lo
	v_ldexp_f64 v[33:34], v[37:38], v26
	v_cndmask_b32_e64 v26, 0, 0xffffff80, vcc_lo
	v_rsq_f64_e32 v[35:36], v[33:34]
	v_cmp_class_f64_e64 vcc_lo, v[33:34], 0x260
	v_mul_f64 v[39:40], v[33:34], v[35:36]
	v_mul_f64 v[35:36], v[35:36], 0.5
	v_fma_f64 v[41:42], -v[35:36], v[39:40], 0.5
	v_fma_f64 v[39:40], v[39:40], v[41:42], v[39:40]
	v_fma_f64 v[35:36], v[35:36], v[41:42], v[35:36]
	v_fma_f64 v[41:42], -v[39:40], v[39:40], v[33:34]
	v_fma_f64 v[39:40], v[41:42], v[35:36], v[39:40]
	v_fma_f64 v[41:42], -v[39:40], v[39:40], v[33:34]
	v_fma_f64 v[35:36], v[41:42], v[35:36], v[39:40]
	v_mul_f64 v[39:40], s[16:17], v[43:44]
	v_ldexp_f64 v[35:36], v[35:36], v26
	v_mul_f64 v[39:40], s[16:17], v[39:40]
	v_cndmask_b32_e32 v46, v36, v34, vcc_lo
	v_cndmask_b32_e32 v45, v35, v33, vcc_lo
	v_div_scale_f64 v[33:34], null, v[39:40], v[39:40], 1.0
	v_div_scale_f64 v[52:53], vcc_lo, 1.0, v[39:40], 1.0
	v_div_scale_f64 v[35:36], null, s[16:17], s[16:17], v[45:46]
	v_rcp_f64_e32 v[41:42], v[33:34]
	v_rcp_f64_e32 v[43:44], v[35:36]
	v_fma_f64 v[47:48], -v[33:34], v[41:42], 1.0
	v_fma_f64 v[49:50], -v[35:36], v[43:44], 1.0
	v_fma_f64 v[41:42], v[41:42], v[47:48], v[41:42]
	v_fma_f64 v[43:44], v[43:44], v[49:50], v[43:44]
	v_fma_f64 v[47:48], -v[33:34], v[41:42], 1.0
	v_fma_f64 v[49:50], -v[35:36], v[43:44], 1.0
	v_fma_f64 v[41:42], v[41:42], v[47:48], v[41:42]
	v_div_scale_f64 v[47:48], s0, v[45:46], s[16:17], v[45:46]
	v_fma_f64 v[43:44], v[43:44], v[49:50], v[43:44]
	v_mul_f64 v[49:50], v[52:53], v[41:42]
	v_mul_f64 v[54:55], v[47:48], v[43:44]
	v_fma_f64 v[33:34], -v[33:34], v[49:50], v[52:53]
	v_fma_f64 v[35:36], -v[35:36], v[54:55], v[47:48]
	v_div_fmas_f64 v[33:34], v[33:34], v[41:42], v[49:50]
	s_mov_b32 vcc_lo, s0
	v_div_fmas_f64 v[35:36], v[35:36], v[43:44], v[54:55]
	v_div_fixup_f64 v[33:34], v[33:34], v[39:40], 1.0
	v_mov_b32_e32 v39, 0
	v_mov_b32_e32 v40, 0
	v_div_fixup_f64 v[35:36], v[35:36], s[16:17], v[45:46]
	v_cmp_nle_f64_e64 s0, 2.0, v[35:36]
	s_and_saveexec_b32 s91, s0
	s_cbranch_execz .LBB1_15
; %bb.8:                                ;   in Loop: Header=BB1_6 Depth=1
                                        ; implicit-def: $vgpr39_vgpr40
	s_mov_b32 s1, exec_lo
	v_cmpx_ngt_f64_e32 1.0, v[35:36]
	s_xor_b32 s92, exec_lo, s1
	s_cbranch_execz .LBB1_12
; %bb.9:                                ;   in Loop: Header=BB1_6 Depth=1
	v_cmp_le_f64_e32 vcc_lo, 1.0, v[35:36]
	v_cmp_gt_f64_e64 s1, 2.0, v[35:36]
	v_mov_b32_e32 v39, 0
	v_mov_b32_e32 v40, 0
	s_and_b32 s1, vcc_lo, s1
	s_and_saveexec_b32 s93, s1
	s_cbranch_execz .LBB1_11
; %bb.10:                               ;   in Loop: Header=BB1_6 Depth=1
	v_add_f64 v[39:40], -v[35:36], 2.0
	s_mov_b32 s4, s28
	s_mov_b32 s58, s50
	;; [unrolled: 1-line block ×3, first 2 shown]
	v_frexp_mant_f64_e64 v[41:42], |v[39:40]|
	v_cmp_gt_f64_e32 vcc_lo, s[28:29], v[41:42]
	v_cndmask_b32_e64 v26, 0, 1, vcc_lo
	v_ldexp_f64 v[41:42], v[41:42], v26
	v_frexp_exp_i32_f64_e32 v26, v[39:40]
	v_add_f64 v[43:44], v[41:42], 1.0
	v_add_f64 v[52:53], v[41:42], -1.0
	v_subrev_co_ci_u32_e64 v26, null, 0, v26, vcc_lo
	v_cmp_eq_f64_e32 vcc_lo, 1.0, v[39:40]
	v_rcp_f64_e32 v[47:48], v[43:44]
	v_add_f64 v[54:55], v[43:44], -1.0
	v_add_f64 v[41:42], v[41:42], -v[54:55]
	v_fma_f64 v[49:50], -v[43:44], v[47:48], 1.0
	v_fma_f64 v[47:48], v[49:50], v[47:48], v[47:48]
	v_fma_f64 v[49:50], -v[43:44], v[47:48], 1.0
	v_fma_f64 v[47:48], v[49:50], v[47:48], v[47:48]
	v_mul_f64 v[49:50], v[52:53], v[47:48]
	v_mul_f64 v[56:57], v[43:44], v[49:50]
	v_fma_f64 v[43:44], v[49:50], v[43:44], -v[56:57]
	v_fma_f64 v[41:42], v[49:50], v[41:42], v[43:44]
	v_add_f64 v[43:44], v[56:57], v[41:42]
	v_add_f64 v[54:55], v[52:53], -v[43:44]
	v_add_f64 v[56:57], v[43:44], -v[56:57]
	;; [unrolled: 1-line block ×5, first 2 shown]
	v_add_f64 v[41:42], v[41:42], v[43:44]
	v_add_f64 v[41:42], v[54:55], v[41:42]
	v_mul_f64 v[41:42], v[47:48], v[41:42]
	v_add_f64 v[43:44], v[49:50], v[41:42]
	v_add_f64 v[47:48], v[43:44], -v[49:50]
	v_mul_f64 v[49:50], v[43:44], v[43:44]
	v_add_f64 v[41:42], v[41:42], -v[47:48]
	v_fma_f64 v[47:48], v[43:44], v[43:44], -v[49:50]
	v_add_f64 v[52:53], v[41:42], v[41:42]
	v_fma_f64 v[47:48], v[43:44], v[52:53], v[47:48]
	v_add_f64 v[52:53], v[49:50], v[47:48]
	v_fma_f64 v[54:55], v[52:53], s[34:35], s[30:31]
	v_add_f64 v[49:50], v[52:53], -v[49:50]
	v_mul_f64 v[60:61], v[43:44], v[52:53]
	v_fma_f64 v[54:55], v[52:53], v[54:55], s[36:37]
	v_add_f64 v[47:48], v[47:48], -v[49:50]
	v_fma_f64 v[54:55], v[52:53], v[54:55], s[38:39]
	v_fma_f64 v[54:55], v[52:53], v[54:55], s[40:41]
	;; [unrolled: 1-line block ×6, first 2 shown]
	v_mul_f64 v[56:57], v[52:53], v[54:55]
	v_fma_f64 v[49:50], v[52:53], v[54:55], -v[56:57]
	v_fma_f64 v[49:50], v[47:48], v[54:55], v[49:50]
	v_add_f64 v[54:55], v[56:57], v[49:50]
	v_add_f64 v[58:59], v[54:55], s[28:29]
	v_add_f64 v[56:57], v[54:55], -v[56:57]
	v_add_f64 v[62:63], v[58:59], s[4:5]
	v_add_f64 v[49:50], v[49:50], -v[56:57]
	v_fma_f64 v[56:57], v[52:53], v[43:44], -v[60:61]
	v_add_f64 v[54:55], v[54:55], -v[62:63]
	v_add_f64 v[49:50], v[49:50], s[54:55]
	v_fma_f64 v[52:53], v[52:53], v[41:42], v[56:57]
	v_ldexp_f64 v[41:42], v[41:42], 1
	v_add_f64 v[49:50], v[49:50], v[54:55]
	v_fma_f64 v[47:48], v[47:48], v[43:44], v[52:53]
	v_ldexp_f64 v[43:44], v[43:44], 1
	v_add_f64 v[52:53], v[58:59], v[49:50]
	v_add_f64 v[54:55], v[60:61], v[47:48]
	v_add_f64 v[56:57], v[58:59], -v[52:53]
	v_mul_f64 v[58:59], v[54:55], v[52:53]
	v_add_f64 v[60:61], v[54:55], -v[60:61]
	v_add_f64 v[49:50], v[49:50], v[56:57]
	v_fma_f64 v[56:57], v[54:55], v[52:53], -v[58:59]
	v_add_f64 v[47:48], v[47:48], -v[60:61]
	v_fma_f64 v[49:50], v[54:55], v[49:50], v[56:57]
	v_fma_f64 v[47:48], v[47:48], v[52:53], v[49:50]
	v_cvt_f64_i32_e32 v[52:53], v26
	v_cndmask_b32_e64 v26, 2.0, 0x3ff00000, vcc_lo
	v_add_f64 v[49:50], v[58:59], v[47:48]
	v_add_f64 v[54:55], v[43:44], v[49:50]
	v_add_f64 v[56:57], v[49:50], -v[58:59]
	v_mul_f64 v[58:59], v[52:53], s[50:51]
	v_add_f64 v[43:44], v[54:55], -v[43:44]
	v_add_f64 v[47:48], v[47:48], -v[56:57]
	v_fma_f64 v[56:57], v[52:53], s[50:51], -v[58:59]
	v_add_f64 v[43:44], v[49:50], -v[43:44]
	v_add_f64 v[41:42], v[41:42], v[47:48]
	v_fma_f64 v[47:48], v[52:53], s[52:53], v[56:57]
	v_add_f64 v[41:42], v[41:42], v[43:44]
	v_add_f64 v[43:44], v[58:59], v[47:48]
	;; [unrolled: 1-line block ×3, first 2 shown]
	v_add_f64 v[58:59], v[43:44], -v[58:59]
	v_add_f64 v[52:53], v[43:44], v[49:50]
	v_add_f64 v[54:55], v[49:50], -v[54:55]
	v_add_f64 v[47:48], v[47:48], -v[58:59]
	v_mul_f64 v[58:59], s[16:17], 4.0
	v_add_f64 v[56:57], v[52:53], -v[43:44]
	v_add_f64 v[41:42], v[41:42], -v[54:55]
	v_mul_f64 v[58:59], v[45:46], v[58:59]
	v_add_f64 v[60:61], v[52:53], -v[56:57]
	v_add_f64 v[49:50], v[49:50], -v[56:57]
	v_add_f64 v[54:55], v[47:48], v[41:42]
	v_add_f64 v[43:44], v[43:44], -v[60:61]
	v_div_scale_f64 v[60:61], null, v[58:59], v[58:59], 0xc0080000
	v_add_f64 v[43:44], v[49:50], v[43:44]
	v_add_f64 v[49:50], v[54:55], -v[47:48]
	v_rcp_f64_e32 v[62:63], v[60:61]
	v_add_f64 v[43:44], v[54:55], v[43:44]
	v_add_f64 v[54:55], v[54:55], -v[49:50]
	v_add_f64 v[41:42], v[41:42], -v[49:50]
	v_fma_f64 v[64:65], -v[60:61], v[62:63], 1.0
	v_add_f64 v[56:57], v[52:53], v[43:44]
	v_add_f64 v[47:48], v[47:48], -v[54:55]
	v_add_f64 v[49:50], v[56:57], -v[52:53]
	v_add_f64 v[41:42], v[41:42], v[47:48]
	v_add_f64 v[43:44], v[43:44], -v[49:50]
	v_add_f64 v[41:42], v[41:42], v[43:44]
	v_add_f64 v[43:44], v[56:57], v[41:42]
	v_add_f64 v[47:48], v[43:44], -v[56:57]
	v_mul_f64 v[49:50], v[25:26], v[43:44]
	v_add_f64 v[41:42], v[41:42], -v[47:48]
	v_fma_f64 v[43:44], v[25:26], v[43:44], -v[49:50]
	v_cmp_class_f64_e64 vcc_lo, v[49:50], 0x204
	v_fma_f64 v[41:42], v[25:26], v[41:42], v[43:44]
	v_add_f64 v[43:44], v[49:50], v[41:42]
	v_cndmask_b32_e32 v48, v44, v50, vcc_lo
	v_cndmask_b32_e32 v47, v43, v49, vcc_lo
	v_add_f64 v[43:44], v[43:44], -v[49:50]
	v_mul_f64 v[52:53], v[47:48], s[56:57]
	v_cmp_neq_f64_e64 vcc_lo, 0x7ff00000, |v[47:48]|
	v_cmp_nlt_f64_e64 s1, 0x40900000, v[47:48]
	v_cmp_ngt_f64_e64 s2, 0xc090cc00, v[47:48]
	v_add_f64 v[41:42], v[41:42], -v[43:44]
	v_mul_f64 v[43:44], v[25:26], 0.5
	v_rndne_f64_e32 v[52:53], v[52:53]
	v_cndmask_b32_e32 v42, 0, v42, vcc_lo
	v_cndmask_b32_e32 v41, 0, v41, vcc_lo
	s_and_b32 vcc_lo, s2, s1
	v_fma_f64 v[54:55], v[52:53], s[58:59], v[47:48]
	v_cvt_i32_f64_e32 v66, v[52:53]
	v_div_scale_f64 v[47:48], s3, 0xc0080000, v[58:59], 0xc0080000
	v_fma_f64 v[54:55], v[52:53], s[60:61], v[54:55]
	v_fma_f64 v[56:57], v[54:55], s[64:65], s[62:63]
	;; [unrolled: 1-line block ×10, first 2 shown]
	v_fma_f64 v[56:57], v[54:55], v[56:57], 1.0
	v_fma_f64 v[52:53], v[54:55], v[56:57], 1.0
	v_fma_f64 v[54:55], v[62:63], v[64:65], v[62:63]
	v_trunc_f64_e32 v[62:63], v[25:26]
	v_ldexp_f64 v[49:50], v[52:53], v66
	v_fma_f64 v[52:53], -v[60:61], v[54:55], 1.0
	v_cmp_eq_f64_e64 s4, v[62:63], v[25:26]
	v_cndmask_b32_e64 v50, 0x7ff00000, v50, s1
	v_fma_f64 v[52:53], v[54:55], v[52:53], v[54:55]
	v_trunc_f64_e32 v[54:55], v[43:44]
	v_cndmask_b32_e32 v49, 0, v49, vcc_lo
	s_mov_b32 vcc_lo, s3
	v_cndmask_b32_e64 v50, 0, v50, s2
	v_cmp_class_f64_e64 s3, v[39:40], 0x204
	v_fma_f64 v[41:42], v[49:50], v[41:42], v[49:50]
	v_cmp_class_f64_e64 s2, v[49:50], 0x204
	v_mul_f64 v[56:57], v[47:48], v[52:53]
	v_cmp_neq_f64_e64 s1, v[54:55], v[43:44]
	v_cndmask_b32_e64 v26, v42, v50, s2
	v_fma_f64 v[43:44], -v[60:61], v[56:57], v[47:48]
	v_cndmask_b32_e64 v47, v41, v49, s2
	v_cmp_eq_f64_e64 s2, 0, v[39:40]
	v_cndmask_b32_e64 v48, 0, v47, s4
	v_div_fmas_f64 v[43:44], v[43:44], v[52:53], v[56:57]
	s_and_b32 vcc_lo, s4, s1
	v_cmp_gt_f64_e64 s1, 0, v[39:40]
	v_cndmask_b32_e32 v41, 0x3ff00000, v40, vcc_lo
	v_cndmask_b32_e64 v39, 0x7ff00000, 0, s2
	v_cndmask_b32_e32 v40, 0, v40, vcc_lo
	s_or_b32 vcc_lo, s2, s3
	v_bfi_b32 v26, 0x7fffffff, v26, v41
	v_bfi_b32 v40, 0x7fffffff, v39, v40
	v_cndmask_b32_e64 v49, 0x7ff80000, v26, s4
	v_div_fixup_f64 v[41:42], v[43:44], v[58:59], 0xc0080000
	v_cndmask_b32_e64 v26, v26, v49, s1
	v_cndmask_b32_e64 v43, v47, v48, s1
	v_cndmask_b32_e32 v40, v26, v40, vcc_lo
	v_cndmask_b32_e64 v39, v43, 0, vcc_lo
	v_mul_f64 v[39:40], v[41:42], v[39:40]
.LBB1_11:                               ;   in Loop: Header=BB1_6 Depth=1
	s_or_b32 exec_lo, exec_lo, s93
.LBB1_12:                               ;   in Loop: Header=BB1_6 Depth=1
	s_andn2_saveexec_b32 s1, s92
	s_cbranch_execz .LBB1_14
; %bb.13:                               ;   in Loop: Header=BB1_6 Depth=1
	v_mul_f64 v[39:40], s[16:17], s[16:17]
	v_div_scale_f64 v[41:42], null, v[39:40], v[39:40], -1.0
	v_div_scale_f64 v[49:50], vcc_lo, -1.0, v[39:40], -1.0
	v_rcp_f64_e32 v[43:44], v[41:42]
	v_fma_f64 v[47:48], -v[41:42], v[43:44], 1.0
	v_fma_f64 v[43:44], v[43:44], v[47:48], v[43:44]
	v_fma_f64 v[47:48], -v[41:42], v[43:44], 1.0
	v_fma_f64 v[43:44], v[43:44], v[47:48], v[43:44]
	v_mul_f64 v[47:48], v[49:50], v[43:44]
	v_fma_f64 v[41:42], -v[41:42], v[47:48], v[49:50]
	v_div_fmas_f64 v[41:42], v[41:42], v[43:44], v[47:48]
	v_div_fixup_f64 v[39:40], v[41:42], v[39:40], -1.0
	v_fma_f64 v[41:42], v[35:36], s[80:81], 0x40080000
	v_mul_f64 v[39:40], v[39:40], v[41:42]
.LBB1_14:                               ;   in Loop: Header=BB1_6 Depth=1
	s_or_b32 exec_lo, exec_lo, s1
	v_mul_f64 v[39:40], v[33:34], v[39:40]
.LBB1_15:                               ;   in Loop: Header=BB1_6 Depth=1
	s_or_b32 exec_lo, exec_lo, s91
	v_mul_f64 v[41:42], s[8:9], s[8:9]
	v_div_scale_f64 v[43:44], null, v[41:42], v[41:42], s[10:11]
	v_div_scale_f64 v[52:53], vcc_lo, s[10:11], v[41:42], s[10:11]
	v_rcp_f64_e32 v[47:48], v[43:44]
	v_fma_f64 v[49:50], -v[43:44], v[47:48], 1.0
	v_fma_f64 v[47:48], v[47:48], v[49:50], v[47:48]
	v_fma_f64 v[49:50], -v[43:44], v[47:48], 1.0
	v_fma_f64 v[47:48], v[47:48], v[49:50], v[47:48]
	v_mul_f64 v[49:50], v[52:53], v[47:48]
	v_fma_f64 v[43:44], -v[43:44], v[49:50], v[52:53]
	v_div_fmas_f64 v[43:44], v[43:44], v[47:48], v[49:50]
	v_add_f64 v[47:48], v[18:19], -s[18:19]
	v_add_f64 v[49:50], v[14:15], -s[22:23]
	v_div_fixup_f64 v[41:42], v[43:44], v[41:42], s[10:11]
	v_add_f64 v[43:44], v[12:13], -s[20:21]
	s_mov_b32 s10, exec_lo
	v_add_f64 v[41:42], v[6:7], v[41:42]
	v_mul_f64 v[43:44], v[27:28], v[43:44]
	v_mul_f64 v[41:42], v[41:42], s[86:87]
	v_fma_f64 v[43:44], v[29:30], v[47:48], v[43:44]
	v_mul_f64 v[39:40], v[41:42], -v[39:40]
	v_fma_f64 v[47:48], v[31:32], v[49:50], v[43:44]
	v_mul_f64 v[43:44], v[29:30], v[39:40]
	v_mul_f64 v[41:42], v[27:28], v[39:40]
	;; [unrolled: 1-line block ×3, first 2 shown]
	v_cmpx_gt_f64_e32 0, v[47:48]
	s_cbranch_execz .LBB1_25
; %bb.16:                               ;   in Loop: Header=BB1_6 Depth=1
	v_mov_b32_e32 v49, 0
	v_mov_b32_e32 v50, 0
	s_and_saveexec_b32 s11, s0
	s_cbranch_execz .LBB1_24
; %bb.17:                               ;   in Loop: Header=BB1_6 Depth=1
                                        ; implicit-def: $vgpr49_vgpr50
	s_mov_b32 s1, exec_lo
	v_cmpx_ngt_f64_e32 1.0, v[35:36]
	s_xor_b32 s18, exec_lo, s1
	s_cbranch_execz .LBB1_21
; %bb.18:                               ;   in Loop: Header=BB1_6 Depth=1
	v_cmp_le_f64_e32 vcc_lo, 1.0, v[35:36]
	v_cmp_gt_f64_e64 s1, 2.0, v[35:36]
	v_mov_b32_e32 v49, 0
	v_mov_b32_e32 v50, 0
	s_and_b32 s1, vcc_lo, s1
	s_and_saveexec_b32 s19, s1
	s_cbranch_execz .LBB1_20
; %bb.19:                               ;   in Loop: Header=BB1_6 Depth=1
	v_add_f64 v[49:50], -v[35:36], 2.0
	s_mov_b32 s4, s28
	s_mov_b32 s58, s50
	;; [unrolled: 1-line block ×3, first 2 shown]
	v_frexp_mant_f64_e64 v[52:53], |v[49:50]|
	v_cmp_gt_f64_e32 vcc_lo, s[28:29], v[52:53]
	v_cndmask_b32_e64 v26, 0, 1, vcc_lo
	v_ldexp_f64 v[52:53], v[52:53], v26
	v_frexp_exp_i32_f64_e32 v26, v[49:50]
	v_add_f64 v[54:55], v[52:53], 1.0
	v_add_f64 v[60:61], v[52:53], -1.0
	v_subrev_co_ci_u32_e64 v26, null, 0, v26, vcc_lo
	v_cmp_eq_f64_e32 vcc_lo, 1.0, v[49:50]
	v_rcp_f64_e32 v[56:57], v[54:55]
	v_add_f64 v[62:63], v[54:55], -1.0
	v_add_f64 v[52:53], v[52:53], -v[62:63]
	v_fma_f64 v[58:59], -v[54:55], v[56:57], 1.0
	v_fma_f64 v[56:57], v[58:59], v[56:57], v[56:57]
	v_fma_f64 v[58:59], -v[54:55], v[56:57], 1.0
	v_fma_f64 v[56:57], v[58:59], v[56:57], v[56:57]
	v_mul_f64 v[58:59], v[60:61], v[56:57]
	v_mul_f64 v[64:65], v[54:55], v[58:59]
	v_fma_f64 v[54:55], v[58:59], v[54:55], -v[64:65]
	v_fma_f64 v[52:53], v[58:59], v[52:53], v[54:55]
	v_add_f64 v[54:55], v[64:65], v[52:53]
	v_add_f64 v[62:63], v[60:61], -v[54:55]
	v_add_f64 v[64:65], v[54:55], -v[64:65]
	v_add_f64 v[60:61], v[60:61], -v[62:63]
	v_add_f64 v[52:53], v[64:65], -v[52:53]
	v_add_f64 v[54:55], v[60:61], -v[54:55]
	v_add_f64 v[52:53], v[52:53], v[54:55]
	v_add_f64 v[52:53], v[62:63], v[52:53]
	v_mul_f64 v[52:53], v[56:57], v[52:53]
	v_add_f64 v[54:55], v[58:59], v[52:53]
	v_add_f64 v[56:57], v[54:55], -v[58:59]
	v_mul_f64 v[58:59], v[54:55], v[54:55]
	v_add_f64 v[52:53], v[52:53], -v[56:57]
	v_fma_f64 v[56:57], v[54:55], v[54:55], -v[58:59]
	v_add_f64 v[60:61], v[52:53], v[52:53]
	v_fma_f64 v[56:57], v[54:55], v[60:61], v[56:57]
	v_add_f64 v[60:61], v[58:59], v[56:57]
	v_fma_f64 v[62:63], v[60:61], s[34:35], s[30:31]
	v_add_f64 v[58:59], v[60:61], -v[58:59]
	v_mul_f64 v[68:69], v[54:55], v[60:61]
	v_fma_f64 v[62:63], v[60:61], v[62:63], s[36:37]
	v_add_f64 v[56:57], v[56:57], -v[58:59]
	v_fma_f64 v[62:63], v[60:61], v[62:63], s[38:39]
	v_fma_f64 v[62:63], v[60:61], v[62:63], s[40:41]
	;; [unrolled: 1-line block ×6, first 2 shown]
	v_mul_f64 v[64:65], v[60:61], v[62:63]
	v_fma_f64 v[58:59], v[60:61], v[62:63], -v[64:65]
	v_fma_f64 v[58:59], v[56:57], v[62:63], v[58:59]
	v_add_f64 v[62:63], v[64:65], v[58:59]
	v_add_f64 v[66:67], v[62:63], s[28:29]
	v_add_f64 v[64:65], v[62:63], -v[64:65]
	v_add_f64 v[70:71], v[66:67], s[4:5]
	v_add_f64 v[58:59], v[58:59], -v[64:65]
	v_fma_f64 v[64:65], v[60:61], v[54:55], -v[68:69]
	v_add_f64 v[62:63], v[62:63], -v[70:71]
	v_add_f64 v[58:59], v[58:59], s[54:55]
	v_fma_f64 v[60:61], v[60:61], v[52:53], v[64:65]
	v_ldexp_f64 v[52:53], v[52:53], 1
	v_add_f64 v[58:59], v[58:59], v[62:63]
	v_fma_f64 v[56:57], v[56:57], v[54:55], v[60:61]
	v_ldexp_f64 v[54:55], v[54:55], 1
	v_add_f64 v[60:61], v[66:67], v[58:59]
	v_add_f64 v[62:63], v[68:69], v[56:57]
	v_add_f64 v[64:65], v[66:67], -v[60:61]
	v_mul_f64 v[66:67], v[62:63], v[60:61]
	v_add_f64 v[68:69], v[62:63], -v[68:69]
	v_add_f64 v[58:59], v[58:59], v[64:65]
	v_fma_f64 v[64:65], v[62:63], v[60:61], -v[66:67]
	v_add_f64 v[56:57], v[56:57], -v[68:69]
	v_fma_f64 v[58:59], v[62:63], v[58:59], v[64:65]
	v_fma_f64 v[56:57], v[56:57], v[60:61], v[58:59]
	v_cvt_f64_i32_e32 v[60:61], v26
	v_cndmask_b32_e64 v26, 2.0, 0x3ff00000, vcc_lo
	v_add_f64 v[58:59], v[66:67], v[56:57]
	v_add_f64 v[62:63], v[54:55], v[58:59]
	v_add_f64 v[64:65], v[58:59], -v[66:67]
	v_mul_f64 v[66:67], v[60:61], s[50:51]
	v_add_f64 v[54:55], v[62:63], -v[54:55]
	v_add_f64 v[56:57], v[56:57], -v[64:65]
	v_fma_f64 v[64:65], v[60:61], s[50:51], -v[66:67]
	v_add_f64 v[54:55], v[58:59], -v[54:55]
	v_add_f64 v[52:53], v[52:53], v[56:57]
	v_fma_f64 v[56:57], v[60:61], s[52:53], v[64:65]
	v_add_f64 v[52:53], v[52:53], v[54:55]
	v_add_f64 v[54:55], v[66:67], v[56:57]
	;; [unrolled: 1-line block ×3, first 2 shown]
	v_add_f64 v[66:67], v[54:55], -v[66:67]
	v_add_f64 v[60:61], v[54:55], v[58:59]
	v_add_f64 v[62:63], v[58:59], -v[62:63]
	v_add_f64 v[56:57], v[56:57], -v[66:67]
	v_mul_f64 v[66:67], s[16:17], 4.0
	v_add_f64 v[64:65], v[60:61], -v[54:55]
	v_add_f64 v[52:53], v[52:53], -v[62:63]
	v_mul_f64 v[45:46], v[45:46], v[66:67]
	v_add_f64 v[68:69], v[60:61], -v[64:65]
	v_add_f64 v[58:59], v[58:59], -v[64:65]
	v_add_f64 v[62:63], v[56:57], v[52:53]
	v_div_scale_f64 v[66:67], null, v[45:46], v[45:46], 0xc0080000
	v_add_f64 v[54:55], v[54:55], -v[68:69]
	v_rcp_f64_e32 v[68:69], v[66:67]
	v_add_f64 v[54:55], v[58:59], v[54:55]
	v_add_f64 v[58:59], v[62:63], -v[56:57]
	v_fma_f64 v[70:71], -v[66:67], v[68:69], 1.0
	v_add_f64 v[54:55], v[62:63], v[54:55]
	v_add_f64 v[62:63], v[62:63], -v[58:59]
	v_add_f64 v[52:53], v[52:53], -v[58:59]
	v_add_f64 v[64:65], v[60:61], v[54:55]
	v_add_f64 v[56:57], v[56:57], -v[62:63]
	v_add_f64 v[58:59], v[64:65], -v[60:61]
	v_add_f64 v[52:53], v[52:53], v[56:57]
	v_add_f64 v[54:55], v[54:55], -v[58:59]
	v_add_f64 v[52:53], v[52:53], v[54:55]
	v_add_f64 v[54:55], v[64:65], v[52:53]
	v_add_f64 v[56:57], v[54:55], -v[64:65]
	v_mul_f64 v[58:59], v[25:26], v[54:55]
	v_add_f64 v[52:53], v[52:53], -v[56:57]
	v_fma_f64 v[54:55], v[25:26], v[54:55], -v[58:59]
	v_cmp_class_f64_e64 vcc_lo, v[58:59], 0x204
	v_fma_f64 v[52:53], v[25:26], v[52:53], v[54:55]
	v_add_f64 v[54:55], v[58:59], v[52:53]
	v_cndmask_b32_e32 v57, v55, v59, vcc_lo
	v_cndmask_b32_e32 v56, v54, v58, vcc_lo
	v_add_f64 v[54:55], v[54:55], -v[58:59]
	v_mul_f64 v[60:61], v[56:57], s[56:57]
	v_cmp_nlt_f64_e64 s1, 0x40900000, v[56:57]
	v_cmp_neq_f64_e64 vcc_lo, 0x7ff00000, |v[56:57]|
	v_cmp_ngt_f64_e64 s2, 0xc090cc00, v[56:57]
	v_add_f64 v[52:53], v[52:53], -v[54:55]
	v_mul_f64 v[54:55], v[25:26], 0.5
	v_rndne_f64_e32 v[60:61], v[60:61]
	v_cndmask_b32_e32 v53, 0, v53, vcc_lo
	v_cndmask_b32_e32 v52, 0, v52, vcc_lo
	s_and_b32 vcc_lo, s2, s1
	v_fma_f64 v[62:63], v[60:61], s[58:59], v[56:57]
	v_cvt_i32_f64_e32 v72, v[60:61]
	v_div_scale_f64 v[56:57], s3, 0xc0080000, v[45:46], 0xc0080000
	v_fma_f64 v[62:63], v[60:61], s[60:61], v[62:63]
	v_fma_f64 v[64:65], v[62:63], s[64:65], s[62:63]
	;; [unrolled: 1-line block ×10, first 2 shown]
	v_fma_f64 v[64:65], v[62:63], v[64:65], 1.0
	v_fma_f64 v[60:61], v[62:63], v[64:65], 1.0
	v_fma_f64 v[62:63], v[68:69], v[70:71], v[68:69]
	v_trunc_f64_e32 v[70:71], v[25:26]
	v_ldexp_f64 v[58:59], v[60:61], v72
	v_fma_f64 v[60:61], -v[66:67], v[62:63], 1.0
	v_cmp_eq_f64_e64 s4, v[70:71], v[25:26]
	v_cndmask_b32_e64 v64, 0x7ff00000, v59, s1
	v_fma_f64 v[59:60], v[62:63], v[60:61], v[62:63]
	v_cndmask_b32_e32 v61, 0, v58, vcc_lo
	s_mov_b32 vcc_lo, s3
	v_cmp_class_f64_e64 s3, v[49:50], 0x204
	v_cndmask_b32_e64 v62, 0, v64, s2
	v_trunc_f64_e32 v[63:64], v[54:55]
	v_fma_f64 v[52:53], v[61:62], v[52:53], v[61:62]
	v_cmp_class_f64_e64 s2, v[61:62], 0x204
	v_mul_f64 v[68:69], v[56:57], v[59:60]
	v_cmp_neq_f64_e64 s1, v[63:64], v[54:55]
	v_cndmask_b32_e64 v52, v52, v61, s2
	v_cndmask_b32_e64 v26, v53, v62, s2
	v_cmp_eq_f64_e64 s2, 0, v[49:50]
	v_cndmask_b32_e64 v53, 0, v52, s4
	v_fma_f64 v[54:55], -v[66:67], v[68:69], v[56:57]
	v_div_fmas_f64 v[54:55], v[54:55], v[59:60], v[68:69]
	s_and_b32 vcc_lo, s4, s1
	v_cmp_gt_f64_e64 s1, 0, v[49:50]
	v_cndmask_b32_e32 v56, 0x3ff00000, v50, vcc_lo
	v_cndmask_b32_e64 v49, 0x7ff00000, 0, s2
	v_cndmask_b32_e32 v50, 0, v50, vcc_lo
	s_or_b32 vcc_lo, s2, s3
	v_bfi_b32 v26, 0x7fffffff, v26, v56
	v_bfi_b32 v50, 0x7fffffff, v49, v50
	v_cndmask_b32_e64 v56, 0x7ff80000, v26, s4
	v_div_fixup_f64 v[45:46], v[54:55], v[45:46], 0xc0080000
	v_cndmask_b32_e64 v26, v26, v56, s1
	v_cndmask_b32_e64 v52, v52, v53, s1
	v_cndmask_b32_e32 v50, v26, v50, vcc_lo
	v_cndmask_b32_e64 v49, v52, 0, vcc_lo
	v_mul_f64 v[49:50], v[45:46], v[49:50]
.LBB1_20:                               ;   in Loop: Header=BB1_6 Depth=1
	s_or_b32 exec_lo, exec_lo, s19
.LBB1_21:                               ;   in Loop: Header=BB1_6 Depth=1
	s_andn2_saveexec_b32 s1, s18
	s_cbranch_execz .LBB1_23
; %bb.22:                               ;   in Loop: Header=BB1_6 Depth=1
	v_mul_f64 v[45:46], s[16:17], s[16:17]
	v_div_scale_f64 v[49:50], null, v[45:46], v[45:46], -1.0
	v_div_scale_f64 v[56:57], vcc_lo, -1.0, v[45:46], -1.0
	v_rcp_f64_e32 v[52:53], v[49:50]
	v_fma_f64 v[54:55], -v[49:50], v[52:53], 1.0
	v_fma_f64 v[52:53], v[52:53], v[54:55], v[52:53]
	v_fma_f64 v[54:55], -v[49:50], v[52:53], 1.0
	v_fma_f64 v[52:53], v[52:53], v[54:55], v[52:53]
	v_mul_f64 v[54:55], v[56:57], v[52:53]
	v_fma_f64 v[49:50], -v[49:50], v[54:55], v[56:57]
	v_div_fmas_f64 v[49:50], v[49:50], v[52:53], v[54:55]
	v_div_fixup_f64 v[45:46], v[49:50], v[45:46], -1.0
	v_fma_f64 v[49:50], v[35:36], s[80:81], 0x40080000
	v_mul_f64 v[49:50], v[45:46], v[49:50]
.LBB1_23:                               ;   in Loop: Header=BB1_6 Depth=1
	s_or_b32 exec_lo, exec_lo, s1
	v_mul_f64 v[49:50], v[33:34], v[49:50]
.LBB1_24:                               ;   in Loop: Header=BB1_6 Depth=1
	s_or_b32 exec_lo, exec_lo, s11
	v_add_f64 v[45:46], s[12:13], s[12:13]
	v_add_f64 v[52:53], v[4:5], s[8:9]
	v_div_scale_f64 v[56:57], null, s[82:83], s[82:83], s[16:17]
	v_mul_f64 v[45:46], s[16:17], v[45:46]
	v_rcp_f64_e32 v[60:61], v[56:57]
	v_mul_f64 v[45:46], s[88:89], v[45:46]
	v_fma_f64 v[64:65], -v[56:57], v[60:61], 1.0
	v_div_scale_f64 v[54:55], null, v[52:53], v[52:53], v[45:46]
	v_div_scale_f64 v[66:67], vcc_lo, v[45:46], v[52:53], v[45:46]
	v_fma_f64 v[60:61], v[60:61], v[64:65], v[60:61]
	v_rcp_f64_e32 v[58:59], v[54:55]
	v_fma_f64 v[64:65], -v[56:57], v[60:61], 1.0
	v_fma_f64 v[62:63], -v[54:55], v[58:59], 1.0
	v_fma_f64 v[60:61], v[60:61], v[64:65], v[60:61]
	v_fma_f64 v[58:59], v[58:59], v[62:63], v[58:59]
	v_fma_f64 v[62:63], -v[54:55], v[58:59], 1.0
	v_fma_f64 v[58:59], v[58:59], v[62:63], v[58:59]
	v_div_scale_f64 v[62:63], s1, s[16:17], 0x40240000, s[16:17]
	v_mul_f64 v[64:65], v[66:67], v[58:59]
	v_mul_f64 v[68:69], v[62:63], v[60:61]
	v_fma_f64 v[54:55], -v[54:55], v[64:65], v[66:67]
	v_fma_f64 v[56:57], -v[56:57], v[68:69], v[62:63]
	v_div_fmas_f64 v[54:55], v[54:55], v[58:59], v[64:65]
	s_mov_b32 vcc_lo, s1
	v_div_fmas_f64 v[56:57], v[56:57], v[60:61], v[68:69]
	v_div_fixup_f64 v[45:46], v[54:55], v[52:53], v[45:46]
	v_div_fixup_f64 v[56:57], v[56:57], 0x40240000, s[16:17]
	v_mul_f64 v[45:46], v[47:48], v[45:46]
	v_mul_f64 v[52:53], s[16:17], v[56:57]
	v_fma_f64 v[37:38], s[16:17], v[52:53], v[37:38]
	v_div_scale_f64 v[47:48], null, v[37:38], v[37:38], v[45:46]
	v_div_scale_f64 v[56:57], vcc_lo, v[45:46], v[37:38], v[45:46]
	v_rcp_f64_e32 v[52:53], v[47:48]
	v_fma_f64 v[54:55], -v[47:48], v[52:53], 1.0
	v_fma_f64 v[52:53], v[52:53], v[54:55], v[52:53]
	v_fma_f64 v[54:55], -v[47:48], v[52:53], 1.0
	v_fma_f64 v[52:53], v[52:53], v[54:55], v[52:53]
	v_mul_f64 v[54:55], v[56:57], v[52:53]
	v_fma_f64 v[47:48], -v[47:48], v[54:55], v[56:57]
	v_div_fmas_f64 v[47:48], v[47:48], v[52:53], v[54:55]
	v_div_fixup_f64 v[37:38], v[47:48], v[37:38], v[45:46]
	v_mul_f64 v[37:38], s[86:87], v[37:38]
	v_mul_f64 v[37:38], v[37:38], v[49:50]
	v_fma_f64 v[43:44], v[29:30], v[37:38], v[43:44]
	v_fma_f64 v[41:42], v[27:28], v[37:38], v[41:42]
	v_fma_f64 v[39:40], v[31:32], v[37:38], v[39:40]
.LBB1_25:                               ;   in Loop: Header=BB1_6 Depth=1
	s_or_b32 exec_lo, exec_lo, s10
	v_mov_b32_e32 v37, 0
	v_mov_b32_e32 v38, 0
	s_and_saveexec_b32 s2, s0
	s_cbranch_execz .LBB1_4
; %bb.26:                               ;   in Loop: Header=BB1_6 Depth=1
                                        ; implicit-def: $vgpr37_vgpr38
	s_mov_b32 s0, exec_lo
	v_cmpx_ngt_f64_e32 1.0, v[35:36]
	s_xor_b32 s3, exec_lo, s0
	s_cbranch_execz .LBB1_30
; %bb.27:                               ;   in Loop: Header=BB1_6 Depth=1
	v_cmp_le_f64_e32 vcc_lo, 1.0, v[35:36]
	v_cmp_gt_f64_e64 s0, 2.0, v[35:36]
	v_mov_b32_e32 v37, 0
	v_mov_b32_e32 v38, 0
	s_and_b32 s0, vcc_lo, s0
	s_and_saveexec_b32 s8, s0
	s_cbranch_execz .LBB1_29
; %bb.28:                               ;   in Loop: Header=BB1_6 Depth=1
	v_add_f64 v[35:36], -v[35:36], 2.0
	s_mov_b32 s4, s28
	s_mov_b32 s58, s50
	;; [unrolled: 1-line block ×3, first 2 shown]
	v_frexp_mant_f64_e64 v[37:38], |v[35:36]|
	v_cmp_gt_f64_e32 vcc_lo, s[28:29], v[37:38]
	v_cndmask_b32_e64 v26, 0, 1, vcc_lo
	v_ldexp_f64 v[37:38], v[37:38], v26
	v_frexp_exp_i32_f64_e32 v26, v[35:36]
	v_add_f64 v[45:46], v[37:38], 1.0
	v_add_f64 v[52:53], v[37:38], -1.0
	v_subrev_co_ci_u32_e64 v26, null, 0, v26, vcc_lo
	v_cmp_eq_f64_e32 vcc_lo, 1.0, v[35:36]
	v_rcp_f64_e32 v[47:48], v[45:46]
	v_add_f64 v[54:55], v[45:46], -1.0
	v_add_f64 v[37:38], v[37:38], -v[54:55]
	v_fma_f64 v[49:50], -v[45:46], v[47:48], 1.0
	v_fma_f64 v[47:48], v[49:50], v[47:48], v[47:48]
	v_fma_f64 v[49:50], -v[45:46], v[47:48], 1.0
	v_fma_f64 v[47:48], v[49:50], v[47:48], v[47:48]
	v_mul_f64 v[49:50], v[52:53], v[47:48]
	v_mul_f64 v[56:57], v[45:46], v[49:50]
	v_fma_f64 v[45:46], v[49:50], v[45:46], -v[56:57]
	v_fma_f64 v[37:38], v[49:50], v[37:38], v[45:46]
	v_add_f64 v[45:46], v[56:57], v[37:38]
	v_add_f64 v[54:55], v[52:53], -v[45:46]
	v_add_f64 v[56:57], v[45:46], -v[56:57]
	;; [unrolled: 1-line block ×5, first 2 shown]
	v_add_f64 v[37:38], v[37:38], v[45:46]
	v_add_f64 v[37:38], v[54:55], v[37:38]
	v_mul_f64 v[37:38], v[47:48], v[37:38]
	v_add_f64 v[45:46], v[49:50], v[37:38]
	v_add_f64 v[47:48], v[45:46], -v[49:50]
	v_mul_f64 v[49:50], v[45:46], v[45:46]
	v_add_f64 v[37:38], v[37:38], -v[47:48]
	v_fma_f64 v[47:48], v[45:46], v[45:46], -v[49:50]
	v_add_f64 v[52:53], v[37:38], v[37:38]
	v_fma_f64 v[47:48], v[45:46], v[52:53], v[47:48]
	v_add_f64 v[52:53], v[49:50], v[47:48]
	v_fma_f64 v[54:55], v[52:53], s[34:35], s[30:31]
	v_add_f64 v[49:50], v[52:53], -v[49:50]
	v_mul_f64 v[60:61], v[45:46], v[52:53]
	v_fma_f64 v[54:55], v[52:53], v[54:55], s[36:37]
	v_add_f64 v[47:48], v[47:48], -v[49:50]
	v_fma_f64 v[54:55], v[52:53], v[54:55], s[38:39]
	v_fma_f64 v[54:55], v[52:53], v[54:55], s[40:41]
	;; [unrolled: 1-line block ×6, first 2 shown]
	v_mul_f64 v[56:57], v[52:53], v[54:55]
	v_fma_f64 v[49:50], v[52:53], v[54:55], -v[56:57]
	v_fma_f64 v[49:50], v[47:48], v[54:55], v[49:50]
	v_add_f64 v[54:55], v[56:57], v[49:50]
	v_add_f64 v[58:59], v[54:55], s[28:29]
	v_add_f64 v[56:57], v[54:55], -v[56:57]
	v_add_f64 v[62:63], v[58:59], s[4:5]
	v_add_f64 v[49:50], v[49:50], -v[56:57]
	v_fma_f64 v[56:57], v[52:53], v[45:46], -v[60:61]
	v_cmp_class_f64_e64 s4, v[35:36], 0x204
	v_add_f64 v[54:55], v[54:55], -v[62:63]
	v_add_f64 v[49:50], v[49:50], s[54:55]
	v_fma_f64 v[52:53], v[52:53], v[37:38], v[56:57]
	v_ldexp_f64 v[37:38], v[37:38], 1
	v_add_f64 v[49:50], v[49:50], v[54:55]
	v_fma_f64 v[47:48], v[47:48], v[45:46], v[52:53]
	v_ldexp_f64 v[45:46], v[45:46], 1
	v_add_f64 v[52:53], v[58:59], v[49:50]
	v_add_f64 v[54:55], v[60:61], v[47:48]
	v_add_f64 v[56:57], v[58:59], -v[52:53]
	v_mul_f64 v[58:59], v[54:55], v[52:53]
	v_add_f64 v[60:61], v[54:55], -v[60:61]
	v_add_f64 v[49:50], v[49:50], v[56:57]
	v_fma_f64 v[56:57], v[54:55], v[52:53], -v[58:59]
	v_add_f64 v[47:48], v[47:48], -v[60:61]
	v_fma_f64 v[49:50], v[54:55], v[49:50], v[56:57]
	v_fma_f64 v[47:48], v[47:48], v[52:53], v[49:50]
	v_cvt_f64_i32_e32 v[52:53], v26
	v_cndmask_b32_e32 v26, 0x40080000, v51, vcc_lo
	v_add_f64 v[49:50], v[58:59], v[47:48]
	v_add_f64 v[54:55], v[45:46], v[49:50]
	v_add_f64 v[56:57], v[49:50], -v[58:59]
	v_mul_f64 v[58:59], v[52:53], s[50:51]
	v_add_f64 v[45:46], v[54:55], -v[45:46]
	v_add_f64 v[47:48], v[47:48], -v[56:57]
	v_fma_f64 v[56:57], v[52:53], s[50:51], -v[58:59]
	v_add_f64 v[45:46], v[49:50], -v[45:46]
	v_add_f64 v[37:38], v[37:38], v[47:48]
	v_fma_f64 v[47:48], v[52:53], s[52:53], v[56:57]
	v_add_f64 v[37:38], v[37:38], v[45:46]
	v_add_f64 v[45:46], v[58:59], v[47:48]
	;; [unrolled: 1-line block ×3, first 2 shown]
	v_add_f64 v[58:59], v[45:46], -v[58:59]
	v_add_f64 v[52:53], v[45:46], v[49:50]
	v_add_f64 v[54:55], v[49:50], -v[54:55]
	v_add_f64 v[47:48], v[47:48], -v[58:59]
	;; [unrolled: 1-line block ×6, first 2 shown]
	v_add_f64 v[54:55], v[47:48], v[37:38]
	v_add_f64 v[45:46], v[45:46], -v[60:61]
	v_add_f64 v[45:46], v[49:50], v[45:46]
	v_add_f64 v[49:50], v[54:55], -v[47:48]
	;; [unrolled: 2-line block ×3, first 2 shown]
	v_add_f64 v[37:38], v[37:38], -v[49:50]
	v_add_f64 v[56:57], v[52:53], v[45:46]
	v_add_f64 v[47:48], v[47:48], -v[54:55]
	v_add_f64 v[49:50], v[56:57], -v[52:53]
	v_add_f64 v[37:38], v[37:38], v[47:48]
	v_add_f64 v[45:46], v[45:46], -v[49:50]
	v_add_f64 v[37:38], v[37:38], v[45:46]
	v_add_f64 v[45:46], v[56:57], v[37:38]
	v_add_f64 v[47:48], v[45:46], -v[56:57]
	v_mul_f64 v[49:50], v[25:26], v[45:46]
	v_add_f64 v[37:38], v[37:38], -v[47:48]
	v_fma_f64 v[45:46], v[25:26], v[45:46], -v[49:50]
	v_cmp_class_f64_e64 vcc_lo, v[49:50], 0x204
	v_fma_f64 v[37:38], v[25:26], v[37:38], v[45:46]
	v_add_f64 v[45:46], v[49:50], v[37:38]
	v_cndmask_b32_e32 v48, v46, v50, vcc_lo
	v_cndmask_b32_e32 v47, v45, v49, vcc_lo
	v_add_f64 v[45:46], v[45:46], -v[49:50]
	v_mul_f64 v[52:53], v[47:48], s[56:57]
	v_cmp_nlt_f64_e64 s0, 0x40900000, v[47:48]
	v_cmp_neq_f64_e64 vcc_lo, 0x7ff00000, |v[47:48]|
	v_cmp_ngt_f64_e64 s1, 0xc090cc00, v[47:48]
	v_add_f64 v[37:38], v[37:38], -v[45:46]
	v_mul_f64 v[45:46], v[25:26], 0.5
	v_rndne_f64_e32 v[52:53], v[52:53]
	v_cndmask_b32_e32 v38, 0, v38, vcc_lo
	v_cndmask_b32_e32 v37, 0, v37, vcc_lo
	s_and_b32 vcc_lo, s1, s0
	v_fma_f64 v[54:55], v[52:53], s[58:59], v[47:48]
	v_cvt_i32_f64_e32 v58, v[52:53]
	v_fma_f64 v[54:55], v[52:53], s[60:61], v[54:55]
	v_fma_f64 v[56:57], v[54:55], s[64:65], s[62:63]
	;; [unrolled: 1-line block ×10, first 2 shown]
	v_fma_f64 v[56:57], v[54:55], v[56:57], 1.0
	v_fma_f64 v[52:53], v[54:55], v[56:57], 1.0
	v_ldexp_f64 v[49:50], v[52:53], v58
	v_trunc_f64_e32 v[52:53], v[25:26]
	v_cndmask_b32_e64 v50, 0x7ff00000, v50, s0
	v_cndmask_b32_e32 v47, 0, v49, vcc_lo
	v_cndmask_b32_e64 v48, 0, v50, s1
	v_trunc_f64_e32 v[49:50], v[45:46]
	v_cmp_eq_f64_e64 s1, v[52:53], v[25:26]
	v_fma_f64 v[37:38], v[47:48], v[37:38], v[47:48]
	v_cmp_class_f64_e64 s0, v[47:48], 0x204
	v_cmp_neq_f64_e32 vcc_lo, v[49:50], v[45:46]
	v_cndmask_b32_e64 v26, v38, v48, s0
	v_cndmask_b32_e64 v37, v37, v47, s0
	v_cmp_gt_f64_e64 s0, 0, v[35:36]
	v_cndmask_b32_e64 v38, 0, v37, s1
	s_and_b32 vcc_lo, s1, vcc_lo
	v_cndmask_b32_e32 v45, 0x3ff00000, v36, vcc_lo
	v_bfi_b32 v26, 0x7fffffff, v26, v45
	v_cndmask_b32_e64 v37, v37, v38, s0
	v_cndmask_b32_e64 v45, 0x7ff80000, v26, s1
	v_cmp_eq_f64_e64 s1, 0, v[35:36]
	v_cndmask_b32_e32 v36, 0, v36, vcc_lo
	v_cndmask_b32_e64 v26, v26, v45, s0
	v_cndmask_b32_e64 v35, 0x7ff00000, 0, s1
	s_or_b32 vcc_lo, s1, s4
	v_bfi_b32 v36, 0x7fffffff, v35, v36
	v_cndmask_b32_e64 v35, v37, 0, vcc_lo
	v_cndmask_b32_e32 v36, v26, v36, vcc_lo
	v_ldexp_f64 v[37:38], v[35:36], -2
.LBB1_29:                               ;   in Loop: Header=BB1_6 Depth=1
	s_or_b32 exec_lo, exec_lo, s8
                                        ; implicit-def: $vgpr35_vgpr36
.LBB1_30:                               ;   in Loop: Header=BB1_6 Depth=1
	s_andn2_saveexec_b32 s0, s3
	s_cbranch_execz .LBB1_3
; %bb.31:                               ;   in Loop: Header=BB1_6 Depth=1
	v_mul_f64 v[37:38], 0xbff80000, v[35:36]
	v_mul_f64 v[45:46], 0x3fe80000, v[35:36]
	v_fma_f64 v[37:38], v[35:36], v[37:38], 1.0
	v_mul_f64 v[45:46], v[35:36], v[45:46]
	v_fma_f64 v[37:38], v[35:36], v[45:46], v[37:38]
	s_branch .LBB1_3
.LBB1_32:
	v_mov_b32_e32 v0, 0
	v_mov_b32_e32 v2, 0
	;; [unrolled: 1-line block ×6, first 2 shown]
.LBB1_33:
	global_store_dwordx4 v[20:21], v[0:3], off offset:88
	global_store_dwordx2 v[20:21], v[23:24], off offset:104
.LBB1_34:
	s_endpgm
	.section	.rodata,"a",@progbits
	.p2align	6, 0x0
	.amdhsa_kernel _Z21updateAccelerationsFPP14fluid_particlePK5param
		.amdhsa_group_segment_fixed_size 0
		.amdhsa_private_segment_fixed_size 0
		.amdhsa_kernarg_size 272
		.amdhsa_user_sgpr_count 6
		.amdhsa_user_sgpr_private_segment_buffer 1
		.amdhsa_user_sgpr_dispatch_ptr 0
		.amdhsa_user_sgpr_queue_ptr 0
		.amdhsa_user_sgpr_kernarg_segment_ptr 1
		.amdhsa_user_sgpr_dispatch_id 0
		.amdhsa_user_sgpr_flat_scratch_init 0
		.amdhsa_user_sgpr_private_segment_size 0
		.amdhsa_wavefront_size32 1
		.amdhsa_uses_dynamic_stack 0
		.amdhsa_system_sgpr_private_segment_wavefront_offset 0
		.amdhsa_system_sgpr_workgroup_id_x 1
		.amdhsa_system_sgpr_workgroup_id_y 0
		.amdhsa_system_sgpr_workgroup_id_z 0
		.amdhsa_system_sgpr_workgroup_info 0
		.amdhsa_system_vgpr_workitem_id 0
		.amdhsa_next_free_vgpr 73
		.amdhsa_next_free_sgpr 94
		.amdhsa_reserve_vcc 1
		.amdhsa_reserve_flat_scratch 0
		.amdhsa_float_round_mode_32 0
		.amdhsa_float_round_mode_16_64 0
		.amdhsa_float_denorm_mode_32 3
		.amdhsa_float_denorm_mode_16_64 3
		.amdhsa_dx10_clamp 1
		.amdhsa_ieee_mode 1
		.amdhsa_fp16_overflow 0
		.amdhsa_workgroup_processor_mode 1
		.amdhsa_memory_ordered 1
		.amdhsa_forward_progress 1
		.amdhsa_shared_vgpr_count 0
		.amdhsa_exception_fp_ieee_invalid_op 0
		.amdhsa_exception_fp_denorm_src 0
		.amdhsa_exception_fp_ieee_div_zero 0
		.amdhsa_exception_fp_ieee_overflow 0
		.amdhsa_exception_fp_ieee_underflow 0
		.amdhsa_exception_fp_ieee_inexact 0
		.amdhsa_exception_int_div_zero 0
	.end_amdhsa_kernel
	.text
.Lfunc_end1:
	.size	_Z21updateAccelerationsFPP14fluid_particlePK5param, .Lfunc_end1-_Z21updateAccelerationsFPP14fluid_particlePK5param
                                        ; -- End function
	.set _Z21updateAccelerationsFPP14fluid_particlePK5param.num_vgpr, 73
	.set _Z21updateAccelerationsFPP14fluid_particlePK5param.num_agpr, 0
	.set _Z21updateAccelerationsFPP14fluid_particlePK5param.numbered_sgpr, 94
	.set _Z21updateAccelerationsFPP14fluid_particlePK5param.num_named_barrier, 0
	.set _Z21updateAccelerationsFPP14fluid_particlePK5param.private_seg_size, 0
	.set _Z21updateAccelerationsFPP14fluid_particlePK5param.uses_vcc, 1
	.set _Z21updateAccelerationsFPP14fluid_particlePK5param.uses_flat_scratch, 0
	.set _Z21updateAccelerationsFPP14fluid_particlePK5param.has_dyn_sized_stack, 0
	.set _Z21updateAccelerationsFPP14fluid_particlePK5param.has_recursion, 0
	.set _Z21updateAccelerationsFPP14fluid_particlePK5param.has_indirect_call, 0
	.section	.AMDGPU.csdata,"",@progbits
; Kernel info:
; codeLenInByte = 6824
; TotalNumSgprs: 96
; NumVgprs: 73
; ScratchSize: 0
; MemoryBound: 1
; FloatMode: 240
; IeeeMode: 1
; LDSByteSize: 0 bytes/workgroup (compile time only)
; SGPRBlocks: 0
; VGPRBlocks: 9
; NumSGPRsForWavesPerEU: 96
; NumVGPRsForWavesPerEU: 73
; Occupancy: 12
; WaveLimiterHint : 0
; COMPUTE_PGM_RSRC2:SCRATCH_EN: 0
; COMPUTE_PGM_RSRC2:USER_SGPR: 6
; COMPUTE_PGM_RSRC2:TRAP_HANDLER: 0
; COMPUTE_PGM_RSRC2:TGID_X_EN: 1
; COMPUTE_PGM_RSRC2:TGID_Y_EN: 0
; COMPUTE_PGM_RSRC2:TGID_Z_EN: 0
; COMPUTE_PGM_RSRC2:TIDIG_COMP_CNT: 0
	.text
	.protected	_Z21updateAccelerationsBPP14fluid_particlePK17boundary_particlePK5param ; -- Begin function _Z21updateAccelerationsBPP14fluid_particlePK17boundary_particlePK5param
	.globl	_Z21updateAccelerationsBPP14fluid_particlePK17boundary_particlePK5param
	.p2align	8
	.type	_Z21updateAccelerationsBPP14fluid_particlePK17boundary_particlePK5param,@function
_Z21updateAccelerationsBPP14fluid_particlePK17boundary_particlePK5param: ; @_Z21updateAccelerationsBPP14fluid_particlePK17boundary_particlePK5param
; %bb.0:
	s_clause 0x1
	s_load_dwordx2 s[0:1], s[4:5], 0x10
	s_load_dword s2, s[4:5], 0x24
	s_waitcnt lgkmcnt(0)
	s_load_dwordx2 s[12:13], s[0:1], 0x4c
	s_and_b32 s2, s2, 0xffff
	v_mad_u64_u32 v[0:1], null, s6, s2, v[0:1]
	s_mov_b32 s2, exec_lo
	s_waitcnt lgkmcnt(0)
	v_cmpx_gt_i32_e64 s12, v0
	s_cbranch_execz .LBB2_15
; %bb.1:
	s_load_dwordx2 s[2:3], s[4:5], 0x0
	s_cmp_lt_i32 s13, 1
	s_waitcnt lgkmcnt(0)
	v_mad_i64_i32 v[8:9], null, 0x70, v0, s[2:3]
	s_clause 0x1
	global_load_dwordx2 v[10:11], v[8:9], off offset:104
	global_load_dwordx4 v[0:3], v[8:9], off offset:88
	s_cbranch_scc1 .LBB2_14
; %bb.2:
	s_clause 0x1
	global_load_dwordx2 v[12:13], v[8:9], off offset:32
	global_load_dwordx4 v[4:7], v[8:9], off offset:16
	s_load_dwordx2 s[2:3], s[4:5], 0x8
	s_clause 0x1
	s_load_dwordx2 s[14:15], s[0:1], 0x18
	s_load_dwordx2 s[16:17], s[0:1], 0x40
	v_mov_b32_e32 v14, 0
	s_mov_b32 s20, 0x47ae147b
	s_mov_b32 s22, 0x55555555
	;; [unrolled: 1-line block ×4, first 2 shown]
	s_waitcnt lgkmcnt(0)
	s_add_u32 s18, s2, 24
	s_addc_u32 s19, s3, 0
	s_branch .LBB2_5
.LBB2_3:                                ;   in Loop: Header=BB2_5 Depth=1
	s_or_b32 exec_lo, exec_lo, s0
.LBB2_4:                                ;   in Loop: Header=BB2_5 Depth=1
	s_or_b32 exec_lo, exec_lo, s1
	v_mul_f64 v[18:19], s[16:17], v[18:19]
	s_add_i32 s13, s13, -1
	s_add_u32 s18, s18, 48
	s_addc_u32 s19, s19, 0
	s_cmp_eq_u32 s13, 0
	v_mul_f64 v[18:19], s[16:17], v[18:19]
	v_div_scale_f64 v[22:23], null, v[16:17], v[16:17], v[18:19]
	v_div_scale_f64 v[28:29], vcc_lo, v[18:19], v[16:17], v[18:19]
	v_rcp_f64_e32 v[24:25], v[22:23]
	v_fma_f64 v[26:27], -v[22:23], v[24:25], 1.0
	v_fma_f64 v[24:25], v[24:25], v[26:27], v[24:25]
	v_fma_f64 v[26:27], -v[22:23], v[24:25], 1.0
	v_fma_f64 v[24:25], v[24:25], v[26:27], v[24:25]
	v_mul_f64 v[26:27], v[28:29], v[24:25]
	v_fma_f64 v[22:23], -v[22:23], v[26:27], v[28:29]
	v_div_fmas_f64 v[22:23], v[22:23], v[24:25], v[26:27]
	v_div_fixup_f64 v[15:16], v[22:23], v[16:17], v[18:19]
	v_mul_f64 v[15:16], v[15:16], v[20:21]
	v_fma_f64 v[0:1], s[6:7], v[15:16], v[0:1]
	v_fma_f64 v[2:3], s[8:9], v[15:16], v[2:3]
	;; [unrolled: 1-line block ×3, first 2 shown]
	s_cbranch_scc1 .LBB2_14
.LBB2_5:                                ; =>This Inner Loop Header: Depth=1
	s_add_u32 s0, s18, 0xffffffe8
	s_addc_u32 s1, s19, -1
	s_clause 0x1
	s_load_dwordx4 s[8:11], s[18:19], 0x8
	s_load_dwordx8 s[0:7], s[0:1], 0x0
	s_waitcnt lgkmcnt(0)
	v_mul_f64 v[17:18], s[8:9], s[8:9]
	s_waitcnt vmcnt(0)
	v_add_f64 v[15:16], v[6:7], -s[2:3]
	v_add_f64 v[19:20], v[4:5], -s[0:1]
	v_add_f64 v[21:22], v[12:13], -s[4:5]
	v_mul_f64 v[23:24], s[6:7], s[6:7]
	v_mul_f64 v[27:28], s[10:11], s[10:11]
	;; [unrolled: 1-line block ×5, first 2 shown]
	v_fma_f64 v[15:16], v[19:20], v[19:20], v[15:16]
	v_mul_f64 v[19:20], v[21:22], v[21:22]
	v_fma_f64 v[17:18], v[25:26], v[23:24], v[17:18]
	v_fma_f64 v[15:16], v[21:22], v[21:22], v[15:16]
	;; [unrolled: 1-line block ×3, first 2 shown]
	v_cmp_gt_f64_e32 vcc_lo, 0x10000000, v[15:16]
	v_cmp_gt_f64_e64 s0, 0x10000000, v[17:18]
	v_cndmask_b32_e64 v19, 0, 0x100, vcc_lo
	v_ldexp_f64 v[15:16], v[15:16], v19
	v_cndmask_b32_e64 v20, 0, 0x100, s0
	v_ldexp_f64 v[18:19], v[17:18], v20
	v_rsq_f64_e32 v[20:21], v[15:16]
	v_cndmask_b32_e64 v17, 0, 0xffffff80, vcc_lo
	v_cmp_class_f64_e64 vcc_lo, v[15:16], 0x260
	v_rsq_f64_e32 v[22:23], v[18:19]
	v_mul_f64 v[24:25], v[15:16], v[20:21]
	v_mul_f64 v[20:21], v[20:21], 0.5
	v_mul_f64 v[26:27], v[18:19], v[22:23]
	v_mul_f64 v[22:23], v[22:23], 0.5
	v_fma_f64 v[28:29], -v[20:21], v[24:25], 0.5
	v_fma_f64 v[30:31], -v[22:23], v[26:27], 0.5
	v_fma_f64 v[24:25], v[24:25], v[28:29], v[24:25]
	v_fma_f64 v[20:21], v[20:21], v[28:29], v[20:21]
	;; [unrolled: 1-line block ×3, first 2 shown]
	v_fma_f64 v[28:29], -v[24:25], v[24:25], v[15:16]
	v_fma_f64 v[22:23], v[22:23], v[30:31], v[22:23]
	v_fma_f64 v[30:31], -v[26:27], v[26:27], v[18:19]
	v_fma_f64 v[24:25], v[28:29], v[20:21], v[24:25]
	v_fma_f64 v[26:27], v[30:31], v[22:23], v[26:27]
	v_fma_f64 v[28:29], -v[24:25], v[24:25], v[15:16]
	v_fma_f64 v[30:31], -v[26:27], v[26:27], v[18:19]
	v_fma_f64 v[20:21], v[28:29], v[20:21], v[24:25]
	v_cndmask_b32_e64 v24, 0, 0xffffff80, s0
	v_cmp_class_f64_e64 s0, v[18:19], 0x260
	v_fma_f64 v[22:23], v[30:31], v[22:23], v[26:27]
	v_ldexp_f64 v[20:21], v[20:21], v17
	v_ldexp_f64 v[22:23], v[22:23], v24
	v_cndmask_b32_e32 v21, v21, v16, vcc_lo
	v_cndmask_b32_e32 v20, v20, v15, vcc_lo
	v_cndmask_b32_e64 v17, v23, v19, s0
	v_cndmask_b32_e64 v16, v22, v18, s0
	v_add_f64 v[20:21], v[20:21], -v[16:17]
	v_div_scale_f64 v[18:19], null, s[14:15], s[14:15], v[20:21]
	v_rcp_f64_e32 v[22:23], v[18:19]
	v_fma_f64 v[24:25], -v[18:19], v[22:23], 1.0
	v_fma_f64 v[22:23], v[22:23], v[24:25], v[22:23]
	v_fma_f64 v[24:25], -v[18:19], v[22:23], 1.0
	v_fma_f64 v[22:23], v[22:23], v[24:25], v[22:23]
	v_div_scale_f64 v[24:25], vcc_lo, v[20:21], s[14:15], v[20:21]
	v_mul_f64 v[26:27], v[24:25], v[22:23]
	v_fma_f64 v[18:19], -v[18:19], v[26:27], v[24:25]
	v_div_fmas_f64 v[18:19], v[18:19], v[22:23], v[26:27]
	v_div_fixup_f64 v[18:19], v[18:19], s[14:15], v[20:21]
	v_cmp_neq_f64_e32 vcc_lo, 1.0, v[18:19]
	v_mov_b32_e32 v18, 0
	v_mov_b32_e32 v19, 0
	s_and_saveexec_b32 s0, vcc_lo
	s_cbranch_execz .LBB2_7
; %bb.6:                                ;   in Loop: Header=BB2_5 Depth=1
	v_cmp_gt_f64_e32 vcc_lo, s[14:15], v[20:21]
	v_cndmask_b32_e64 v15, 0, 0x3ff00000, vcc_lo
	v_add_f64 v[18:19], v[14:15], v[14:15]
	v_mul_f64 v[18:19], v[18:19], s[20:21]
.LBB2_7:                                ;   in Loop: Header=BB2_5 Depth=1
	s_or_b32 exec_lo, exec_lo, s0
	v_div_scale_f64 v[20:21], null, s[14:15], s[14:15], v[16:17]
	v_div_scale_f64 v[26:27], vcc_lo, v[16:17], s[14:15], v[16:17]
	v_rcp_f64_e32 v[22:23], v[20:21]
	v_fma_f64 v[24:25], -v[20:21], v[22:23], 1.0
	v_fma_f64 v[22:23], v[22:23], v[24:25], v[22:23]
	v_fma_f64 v[24:25], -v[20:21], v[22:23], 1.0
	v_fma_f64 v[22:23], v[22:23], v[24:25], v[22:23]
	v_mul_f64 v[24:25], v[26:27], v[22:23]
	v_fma_f64 v[20:21], -v[20:21], v[24:25], v[26:27]
	v_div_fmas_f64 v[20:21], v[20:21], v[22:23], v[24:25]
	v_div_fixup_f64 v[22:23], v[20:21], s[14:15], v[16:17]
	v_mov_b32_e32 v20, s22
	v_mov_b32_e32 v21, s23
	v_cmp_nlt_f64_e32 vcc_lo, 0, v[22:23]
	v_cmp_ngt_f64_e64 s0, s[22:23], v[22:23]
	s_or_b32 s0, vcc_lo, s0
	s_and_saveexec_b32 s1, s0
	s_cbranch_execz .LBB2_4
; %bb.8:                                ;   in Loop: Header=BB2_5 Depth=1
	v_cmp_ngt_f64_e32 vcc_lo, 1.0, v[22:23]
	v_cmp_nlt_f64_e64 s0, s[22:23], v[22:23]
                                        ; implicit-def: $vgpr20_vgpr21
	s_or_b32 s0, vcc_lo, s0
	s_and_saveexec_b32 s2, s0
	s_xor_b32 s2, exec_lo, s2
	s_cbranch_execz .LBB2_12
; %bb.9:                                ;   in Loop: Header=BB2_5 Depth=1
	v_cmp_gt_f64_e32 vcc_lo, 2.0, v[22:23]
	v_cmp_lt_f64_e64 s0, 1.0, v[22:23]
	v_mov_b32_e32 v20, 0
	v_mov_b32_e32 v21, 0
	s_and_b32 s3, vcc_lo, s0
	s_and_saveexec_b32 s0, s3
	s_cbranch_execz .LBB2_11
; %bb.10:                               ;   in Loop: Header=BB2_5 Depth=1
	v_add_f64 v[20:21], -v[22:23], 2.0
	v_mul_f64 v[22:23], v[20:21], 0.5
	v_mul_f64 v[20:21], v[20:21], v[22:23]
.LBB2_11:                               ;   in Loop: Header=BB2_5 Depth=1
	s_or_b32 exec_lo, exec_lo, s0
                                        ; implicit-def: $vgpr22_vgpr23
.LBB2_12:                               ;   in Loop: Header=BB2_5 Depth=1
	s_andn2_saveexec_b32 s0, s2
	s_cbranch_execz .LBB2_3
; %bb.13:                               ;   in Loop: Header=BB2_5 Depth=1
	v_mul_f64 v[20:21], 0xbff80000, v[22:23]
	v_mul_f64 v[20:21], v[22:23], v[20:21]
	v_fma_f64 v[20:21], v[22:23], 2.0, v[20:21]
	s_branch .LBB2_3
.LBB2_14:
	s_waitcnt vmcnt(0)
	global_store_dwordx4 v[8:9], v[0:3], off offset:88
	global_store_dwordx2 v[8:9], v[10:11], off offset:104
.LBB2_15:
	s_endpgm
	.section	.rodata,"a",@progbits
	.p2align	6, 0x0
	.amdhsa_kernel _Z21updateAccelerationsBPP14fluid_particlePK17boundary_particlePK5param
		.amdhsa_group_segment_fixed_size 0
		.amdhsa_private_segment_fixed_size 0
		.amdhsa_kernarg_size 280
		.amdhsa_user_sgpr_count 6
		.amdhsa_user_sgpr_private_segment_buffer 1
		.amdhsa_user_sgpr_dispatch_ptr 0
		.amdhsa_user_sgpr_queue_ptr 0
		.amdhsa_user_sgpr_kernarg_segment_ptr 1
		.amdhsa_user_sgpr_dispatch_id 0
		.amdhsa_user_sgpr_flat_scratch_init 0
		.amdhsa_user_sgpr_private_segment_size 0
		.amdhsa_wavefront_size32 1
		.amdhsa_uses_dynamic_stack 0
		.amdhsa_system_sgpr_private_segment_wavefront_offset 0
		.amdhsa_system_sgpr_workgroup_id_x 1
		.amdhsa_system_sgpr_workgroup_id_y 0
		.amdhsa_system_sgpr_workgroup_id_z 0
		.amdhsa_system_sgpr_workgroup_info 0
		.amdhsa_system_vgpr_workitem_id 0
		.amdhsa_next_free_vgpr 32
		.amdhsa_next_free_sgpr 24
		.amdhsa_reserve_vcc 1
		.amdhsa_reserve_flat_scratch 0
		.amdhsa_float_round_mode_32 0
		.amdhsa_float_round_mode_16_64 0
		.amdhsa_float_denorm_mode_32 3
		.amdhsa_float_denorm_mode_16_64 3
		.amdhsa_dx10_clamp 1
		.amdhsa_ieee_mode 1
		.amdhsa_fp16_overflow 0
		.amdhsa_workgroup_processor_mode 1
		.amdhsa_memory_ordered 1
		.amdhsa_forward_progress 1
		.amdhsa_shared_vgpr_count 0
		.amdhsa_exception_fp_ieee_invalid_op 0
		.amdhsa_exception_fp_denorm_src 0
		.amdhsa_exception_fp_ieee_div_zero 0
		.amdhsa_exception_fp_ieee_overflow 0
		.amdhsa_exception_fp_ieee_underflow 0
		.amdhsa_exception_fp_ieee_inexact 0
		.amdhsa_exception_int_div_zero 0
	.end_amdhsa_kernel
	.text
.Lfunc_end2:
	.size	_Z21updateAccelerationsBPP14fluid_particlePK17boundary_particlePK5param, .Lfunc_end2-_Z21updateAccelerationsBPP14fluid_particlePK17boundary_particlePK5param
                                        ; -- End function
	.set _Z21updateAccelerationsBPP14fluid_particlePK17boundary_particlePK5param.num_vgpr, 32
	.set _Z21updateAccelerationsBPP14fluid_particlePK17boundary_particlePK5param.num_agpr, 0
	.set _Z21updateAccelerationsBPP14fluid_particlePK17boundary_particlePK5param.numbered_sgpr, 24
	.set _Z21updateAccelerationsBPP14fluid_particlePK17boundary_particlePK5param.num_named_barrier, 0
	.set _Z21updateAccelerationsBPP14fluid_particlePK17boundary_particlePK5param.private_seg_size, 0
	.set _Z21updateAccelerationsBPP14fluid_particlePK17boundary_particlePK5param.uses_vcc, 1
	.set _Z21updateAccelerationsBPP14fluid_particlePK17boundary_particlePK5param.uses_flat_scratch, 0
	.set _Z21updateAccelerationsBPP14fluid_particlePK17boundary_particlePK5param.has_dyn_sized_stack, 0
	.set _Z21updateAccelerationsBPP14fluid_particlePK17boundary_particlePK5param.has_recursion, 0
	.set _Z21updateAccelerationsBPP14fluid_particlePK17boundary_particlePK5param.has_indirect_call, 0
	.section	.AMDGPU.csdata,"",@progbits
; Kernel info:
; codeLenInByte = 1248
; TotalNumSgprs: 26
; NumVgprs: 32
; ScratchSize: 0
; MemoryBound: 1
; FloatMode: 240
; IeeeMode: 1
; LDSByteSize: 0 bytes/workgroup (compile time only)
; SGPRBlocks: 0
; VGPRBlocks: 3
; NumSGPRsForWavesPerEU: 26
; NumVGPRsForWavesPerEU: 32
; Occupancy: 16
; WaveLimiterHint : 0
; COMPUTE_PGM_RSRC2:SCRATCH_EN: 0
; COMPUTE_PGM_RSRC2:USER_SGPR: 6
; COMPUTE_PGM_RSRC2:TRAP_HANDLER: 0
; COMPUTE_PGM_RSRC2:TGID_X_EN: 1
; COMPUTE_PGM_RSRC2:TGID_Y_EN: 0
; COMPUTE_PGM_RSRC2:TGID_Z_EN: 0
; COMPUTE_PGM_RSRC2:TIDIG_COMP_CNT: 0
	.text
	.protected	_Z15updatePositionsP14fluid_particlePK5param ; -- Begin function _Z15updatePositionsP14fluid_particlePK5param
	.globl	_Z15updatePositionsP14fluid_particlePK5param
	.p2align	8
	.type	_Z15updatePositionsP14fluid_particlePK5param,@function
_Z15updatePositionsP14fluid_particlePK5param: ; @_Z15updatePositionsP14fluid_particlePK5param
; %bb.0:
	s_clause 0x1
	s_load_dwordx2 s[0:1], s[4:5], 0x8
	s_load_dword s2, s[4:5], 0x1c
	s_waitcnt lgkmcnt(0)
	s_load_dword s3, s[0:1], 0x4c
	s_and_b32 s2, s2, 0xffff
	v_mad_u64_u32 v[0:1], null, s6, s2, v[0:1]
	s_mov_b32 s2, exec_lo
	s_waitcnt lgkmcnt(0)
	v_cmpx_gt_i32_e64 s3, v0
	s_cbranch_execz .LBB3_2
; %bb.1:
	s_load_dwordx2 s[2:3], s[4:5], 0x0
	s_waitcnt lgkmcnt(0)
	v_mad_i64_i32 v[16:17], null, 0x70, v0, s[2:3]
	s_clause 0x4
	global_load_dwordx4 v[0:3], v[16:17], off offset:80
	global_load_dwordx4 v[4:7], v[16:17], off offset:64
	;; [unrolled: 1-line block ×4, first 2 shown]
	global_load_dwordx2 v[18:19], v[16:17], off offset:32
	s_load_dwordx2 s[0:1], s[0:1], 0x28
	s_waitcnt lgkmcnt(0)
	v_mul_f64 v[20:21], s[0:1], 0.5
	s_waitcnt vmcnt(3)
	v_fma_f64 v[4:5], s[0:1], v[2:3], v[4:5]
	s_waitcnt vmcnt(2)
	v_fma_f64 v[6:7], s[0:1], v[8:9], v[6:7]
	v_fma_f64 v[22:23], s[0:1], v[10:11], v[0:1]
	s_waitcnt vmcnt(1)
	v_fma_f64 v[12:13], s[0:1], v[4:5], v[12:13]
	v_fma_f64 v[8:9], v[20:21], v[8:9], v[6:7]
	;; [unrolled: 1-line block ×5, first 2 shown]
	s_waitcnt vmcnt(0)
	v_fma_f64 v[0:1], s[0:1], v[22:23], v[18:19]
	global_store_dwordx4 v[16:17], v[4:7], off offset:64
	global_store_dwordx2 v[16:17], v[22:23], off offset:80
	global_store_dwordx4 v[16:17], v[8:11], off offset:48
	global_store_dwordx4 v[16:17], v[12:15], off offset:16
	;; [unrolled: 1-line block ×3, first 2 shown]
.LBB3_2:
	s_endpgm
	.section	.rodata,"a",@progbits
	.p2align	6, 0x0
	.amdhsa_kernel _Z15updatePositionsP14fluid_particlePK5param
		.amdhsa_group_segment_fixed_size 0
		.amdhsa_private_segment_fixed_size 0
		.amdhsa_kernarg_size 272
		.amdhsa_user_sgpr_count 6
		.amdhsa_user_sgpr_private_segment_buffer 1
		.amdhsa_user_sgpr_dispatch_ptr 0
		.amdhsa_user_sgpr_queue_ptr 0
		.amdhsa_user_sgpr_kernarg_segment_ptr 1
		.amdhsa_user_sgpr_dispatch_id 0
		.amdhsa_user_sgpr_flat_scratch_init 0
		.amdhsa_user_sgpr_private_segment_size 0
		.amdhsa_wavefront_size32 1
		.amdhsa_uses_dynamic_stack 0
		.amdhsa_system_sgpr_private_segment_wavefront_offset 0
		.amdhsa_system_sgpr_workgroup_id_x 1
		.amdhsa_system_sgpr_workgroup_id_y 0
		.amdhsa_system_sgpr_workgroup_id_z 0
		.amdhsa_system_sgpr_workgroup_info 0
		.amdhsa_system_vgpr_workitem_id 0
		.amdhsa_next_free_vgpr 24
		.amdhsa_next_free_sgpr 7
		.amdhsa_reserve_vcc 0
		.amdhsa_reserve_flat_scratch 0
		.amdhsa_float_round_mode_32 0
		.amdhsa_float_round_mode_16_64 0
		.amdhsa_float_denorm_mode_32 3
		.amdhsa_float_denorm_mode_16_64 3
		.amdhsa_dx10_clamp 1
		.amdhsa_ieee_mode 1
		.amdhsa_fp16_overflow 0
		.amdhsa_workgroup_processor_mode 1
		.amdhsa_memory_ordered 1
		.amdhsa_forward_progress 1
		.amdhsa_shared_vgpr_count 0
		.amdhsa_exception_fp_ieee_invalid_op 0
		.amdhsa_exception_fp_denorm_src 0
		.amdhsa_exception_fp_ieee_div_zero 0
		.amdhsa_exception_fp_ieee_overflow 0
		.amdhsa_exception_fp_ieee_underflow 0
		.amdhsa_exception_fp_ieee_inexact 0
		.amdhsa_exception_int_div_zero 0
	.end_amdhsa_kernel
	.text
.Lfunc_end3:
	.size	_Z15updatePositionsP14fluid_particlePK5param, .Lfunc_end3-_Z15updatePositionsP14fluid_particlePK5param
                                        ; -- End function
	.set _Z15updatePositionsP14fluid_particlePK5param.num_vgpr, 24
	.set _Z15updatePositionsP14fluid_particlePK5param.num_agpr, 0
	.set _Z15updatePositionsP14fluid_particlePK5param.numbered_sgpr, 7
	.set _Z15updatePositionsP14fluid_particlePK5param.num_named_barrier, 0
	.set _Z15updatePositionsP14fluid_particlePK5param.private_seg_size, 0
	.set _Z15updatePositionsP14fluid_particlePK5param.uses_vcc, 0
	.set _Z15updatePositionsP14fluid_particlePK5param.uses_flat_scratch, 0
	.set _Z15updatePositionsP14fluid_particlePK5param.has_dyn_sized_stack, 0
	.set _Z15updatePositionsP14fluid_particlePK5param.has_recursion, 0
	.set _Z15updatePositionsP14fluid_particlePK5param.has_indirect_call, 0
	.section	.AMDGPU.csdata,"",@progbits
; Kernel info:
; codeLenInByte = 288
; TotalNumSgprs: 7
; NumVgprs: 24
; ScratchSize: 0
; MemoryBound: 0
; FloatMode: 240
; IeeeMode: 1
; LDSByteSize: 0 bytes/workgroup (compile time only)
; SGPRBlocks: 0
; VGPRBlocks: 2
; NumSGPRsForWavesPerEU: 7
; NumVGPRsForWavesPerEU: 24
; Occupancy: 16
; WaveLimiterHint : 0
; COMPUTE_PGM_RSRC2:SCRATCH_EN: 0
; COMPUTE_PGM_RSRC2:USER_SGPR: 6
; COMPUTE_PGM_RSRC2:TRAP_HANDLER: 0
; COMPUTE_PGM_RSRC2:TGID_X_EN: 1
; COMPUTE_PGM_RSRC2:TGID_Y_EN: 0
; COMPUTE_PGM_RSRC2:TGID_Z_EN: 0
; COMPUTE_PGM_RSRC2:TIDIG_COMP_CNT: 0
	.text
	.p2alignl 6, 3214868480
	.fill 48, 4, 3214868480
	.section	.AMDGPU.gpr_maximums,"",@progbits
	.set amdgpu.max_num_vgpr, 0
	.set amdgpu.max_num_agpr, 0
	.set amdgpu.max_num_sgpr, 0
	.text
	.type	__hip_cuid_e29cbd9aed8197d0,@object ; @__hip_cuid_e29cbd9aed8197d0
	.section	.bss,"aw",@nobits
	.globl	__hip_cuid_e29cbd9aed8197d0
__hip_cuid_e29cbd9aed8197d0:
	.byte	0                               ; 0x0
	.size	__hip_cuid_e29cbd9aed8197d0, 1

	.ident	"AMD clang version 22.0.0git (https://github.com/RadeonOpenCompute/llvm-project roc-7.2.4 26084 f58b06dce1f9c15707c5f808fd002e18c2accf7e)"
	.section	".note.GNU-stack","",@progbits
	.addrsig
	.addrsig_sym __hip_cuid_e29cbd9aed8197d0
	.amdgpu_metadata
---
amdhsa.kernels:
  - .args:
      - .address_space:  global
        .offset:         0
        .size:           8
        .value_kind:     global_buffer
      - .actual_access:  read_only
        .address_space:  global
        .offset:         8
        .size:           8
        .value_kind:     global_buffer
      - .offset:         16
        .size:           4
        .value_kind:     hidden_block_count_x
      - .offset:         20
        .size:           4
        .value_kind:     hidden_block_count_y
      - .offset:         24
        .size:           4
        .value_kind:     hidden_block_count_z
      - .offset:         28
        .size:           2
        .value_kind:     hidden_group_size_x
      - .offset:         30
        .size:           2
        .value_kind:     hidden_group_size_y
      - .offset:         32
        .size:           2
        .value_kind:     hidden_group_size_z
      - .offset:         34
        .size:           2
        .value_kind:     hidden_remainder_x
      - .offset:         36
        .size:           2
        .value_kind:     hidden_remainder_y
      - .offset:         38
        .size:           2
        .value_kind:     hidden_remainder_z
      - .offset:         56
        .size:           8
        .value_kind:     hidden_global_offset_x
      - .offset:         64
        .size:           8
        .value_kind:     hidden_global_offset_y
      - .offset:         72
        .size:           8
        .value_kind:     hidden_global_offset_z
      - .offset:         80
        .size:           2
        .value_kind:     hidden_grid_dims
    .group_segment_fixed_size: 0
    .kernarg_segment_align: 8
    .kernarg_segment_size: 272
    .language:       OpenCL C
    .language_version:
      - 2
      - 0
    .max_flat_workgroup_size: 1024
    .name:           _Z15updatePressuresP14fluid_particlePK5param
    .private_segment_fixed_size: 0
    .sgpr_count:     83
    .sgpr_spill_count: 0
    .symbol:         _Z15updatePressuresP14fluid_particlePK5param.kd
    .uniform_work_group_size: 1
    .uses_dynamic_stack: false
    .vgpr_count:     55
    .vgpr_spill_count: 0
    .wavefront_size: 32
    .workgroup_processor_mode: 1
  - .args:
      - .address_space:  global
        .offset:         0
        .size:           8
        .value_kind:     global_buffer
      - .actual_access:  read_only
        .address_space:  global
        .offset:         8
        .size:           8
        .value_kind:     global_buffer
      - .offset:         16
        .size:           4
        .value_kind:     hidden_block_count_x
      - .offset:         20
        .size:           4
        .value_kind:     hidden_block_count_y
      - .offset:         24
        .size:           4
        .value_kind:     hidden_block_count_z
      - .offset:         28
        .size:           2
        .value_kind:     hidden_group_size_x
      - .offset:         30
        .size:           2
        .value_kind:     hidden_group_size_y
      - .offset:         32
        .size:           2
        .value_kind:     hidden_group_size_z
      - .offset:         34
        .size:           2
        .value_kind:     hidden_remainder_x
      - .offset:         36
        .size:           2
        .value_kind:     hidden_remainder_y
      - .offset:         38
        .size:           2
        .value_kind:     hidden_remainder_z
      - .offset:         56
        .size:           8
        .value_kind:     hidden_global_offset_x
      - .offset:         64
        .size:           8
        .value_kind:     hidden_global_offset_y
      - .offset:         72
        .size:           8
        .value_kind:     hidden_global_offset_z
      - .offset:         80
        .size:           2
        .value_kind:     hidden_grid_dims
    .group_segment_fixed_size: 0
    .kernarg_segment_align: 8
    .kernarg_segment_size: 272
    .language:       OpenCL C
    .language_version:
      - 2
      - 0
    .max_flat_workgroup_size: 1024
    .name:           _Z21updateAccelerationsFPP14fluid_particlePK5param
    .private_segment_fixed_size: 0
    .sgpr_count:     96
    .sgpr_spill_count: 0
    .symbol:         _Z21updateAccelerationsFPP14fluid_particlePK5param.kd
    .uniform_work_group_size: 1
    .uses_dynamic_stack: false
    .vgpr_count:     73
    .vgpr_spill_count: 0
    .wavefront_size: 32
    .workgroup_processor_mode: 1
  - .args:
      - .address_space:  global
        .offset:         0
        .size:           8
        .value_kind:     global_buffer
      - .actual_access:  read_only
        .address_space:  global
        .offset:         8
        .size:           8
        .value_kind:     global_buffer
      - .actual_access:  read_only
        .address_space:  global
        .offset:         16
        .size:           8
        .value_kind:     global_buffer
      - .offset:         24
        .size:           4
        .value_kind:     hidden_block_count_x
      - .offset:         28
        .size:           4
        .value_kind:     hidden_block_count_y
      - .offset:         32
        .size:           4
        .value_kind:     hidden_block_count_z
      - .offset:         36
        .size:           2
        .value_kind:     hidden_group_size_x
      - .offset:         38
        .size:           2
        .value_kind:     hidden_group_size_y
      - .offset:         40
        .size:           2
        .value_kind:     hidden_group_size_z
      - .offset:         42
        .size:           2
        .value_kind:     hidden_remainder_x
      - .offset:         44
        .size:           2
        .value_kind:     hidden_remainder_y
      - .offset:         46
        .size:           2
        .value_kind:     hidden_remainder_z
      - .offset:         64
        .size:           8
        .value_kind:     hidden_global_offset_x
      - .offset:         72
        .size:           8
        .value_kind:     hidden_global_offset_y
      - .offset:         80
        .size:           8
        .value_kind:     hidden_global_offset_z
      - .offset:         88
        .size:           2
        .value_kind:     hidden_grid_dims
    .group_segment_fixed_size: 0
    .kernarg_segment_align: 8
    .kernarg_segment_size: 280
    .language:       OpenCL C
    .language_version:
      - 2
      - 0
    .max_flat_workgroup_size: 1024
    .name:           _Z21updateAccelerationsBPP14fluid_particlePK17boundary_particlePK5param
    .private_segment_fixed_size: 0
    .sgpr_count:     26
    .sgpr_spill_count: 0
    .symbol:         _Z21updateAccelerationsBPP14fluid_particlePK17boundary_particlePK5param.kd
    .uniform_work_group_size: 1
    .uses_dynamic_stack: false
    .vgpr_count:     32
    .vgpr_spill_count: 0
    .wavefront_size: 32
    .workgroup_processor_mode: 1
  - .args:
      - .address_space:  global
        .offset:         0
        .size:           8
        .value_kind:     global_buffer
      - .actual_access:  read_only
        .address_space:  global
        .offset:         8
        .size:           8
        .value_kind:     global_buffer
      - .offset:         16
        .size:           4
        .value_kind:     hidden_block_count_x
      - .offset:         20
        .size:           4
        .value_kind:     hidden_block_count_y
      - .offset:         24
        .size:           4
        .value_kind:     hidden_block_count_z
      - .offset:         28
        .size:           2
        .value_kind:     hidden_group_size_x
      - .offset:         30
        .size:           2
        .value_kind:     hidden_group_size_y
      - .offset:         32
        .size:           2
        .value_kind:     hidden_group_size_z
      - .offset:         34
        .size:           2
        .value_kind:     hidden_remainder_x
      - .offset:         36
        .size:           2
        .value_kind:     hidden_remainder_y
      - .offset:         38
        .size:           2
        .value_kind:     hidden_remainder_z
      - .offset:         56
        .size:           8
        .value_kind:     hidden_global_offset_x
      - .offset:         64
        .size:           8
        .value_kind:     hidden_global_offset_y
      - .offset:         72
        .size:           8
        .value_kind:     hidden_global_offset_z
      - .offset:         80
        .size:           2
        .value_kind:     hidden_grid_dims
    .group_segment_fixed_size: 0
    .kernarg_segment_align: 8
    .kernarg_segment_size: 272
    .language:       OpenCL C
    .language_version:
      - 2
      - 0
    .max_flat_workgroup_size: 1024
    .name:           _Z15updatePositionsP14fluid_particlePK5param
    .private_segment_fixed_size: 0
    .sgpr_count:     7
    .sgpr_spill_count: 0
    .symbol:         _Z15updatePositionsP14fluid_particlePK5param.kd
    .uniform_work_group_size: 1
    .uses_dynamic_stack: false
    .vgpr_count:     24
    .vgpr_spill_count: 0
    .wavefront_size: 32
    .workgroup_processor_mode: 1
amdhsa.target:   amdgcn-amd-amdhsa--gfx1030
amdhsa.version:
  - 1
  - 2
...

	.end_amdgpu_metadata
